;; amdgpu-corpus repo=zjin-lcf/HeCBench kind=compiled arch=gfx1201 opt=O3
	.amdgcn_target "amdgcn-amd-amdhsa--gfx1201"
	.amdhsa_code_object_version 6
	.text
	.protected	_Z21k_forward_rush_larsenPdddPKdi ; -- Begin function _Z21k_forward_rush_larsenPdddPKdi
	.globl	_Z21k_forward_rush_larsenPdddPKdi
	.p2align	8
	.type	_Z21k_forward_rush_larsenPdddPKdi,@function
_Z21k_forward_rush_larsenPdddPKdi:      ; @_Z21k_forward_rush_larsenPdddPKdi
; %bb.0:
	s_clause 0x1
	s_load_b32 s2, s[0:1], 0x34
	s_load_b32 s6, s[0:1], 0x20
	s_wait_kmcnt 0x0
	s_and_b32 s2, s2, 0xffff
	s_delay_alu instid0(SALU_CYCLE_1)
	v_mad_co_u64_u32 v[12:13], null, ttmp9, s2, v[0:1]
	s_mov_b32 s2, exec_lo
	v_cmpx_gt_i32_e64 s6, v12
	s_cbranch_execz .LBB0_86
; %bb.1:
	v_add3_u32 v11, s6, s6, v12
	s_lshl_b32 s2, s6, 1
	s_load_b256 s[8:15], s[0:1], 0x0
	s_mov_b32 s0, 0x6db6db6e
	s_mov_b32 s1, 0xc00db6db
	v_add_nc_u32_e32 v21, s6, v11
	s_mov_b32 s4, 0xfefa39ef
	s_mov_b32 s5, 0xbfe62e42
	s_mov_b32 s16, 0x3b39803f
	s_mov_b32 s17, 0xbc7abc9e
	v_add_nc_u32_e32 v23, s6, v21
	s_mov_b32 s18, 0xfca7ab0c
	s_mov_b32 s20, 0x6a5dcb37
	;; [unrolled: 5-line block ×6, first 2 shown]
	s_mov_b32 s38, 11
	s_mov_b32 s39, 0x3fe00000
	v_add_nc_u32_e32 v20, s6, v14
	v_ashrrev_i32_e32 v22, 31, v21
	s_ashr_i32 s7, s6, 31
	v_ashrrev_i32_e32 v19, 31, v18
	s_delay_alu instid0(VALU_DEP_3) | instskip(NEXT) | instid1(VALU_DEP_3)
	v_add_nc_u32_e32 v10, s6, v20
	v_lshlrev_b64_e32 v[21:22], 3, v[21:22]
	s_delay_alu instid0(VALU_DEP_2) | instskip(NEXT) | instid1(VALU_DEP_1)
	v_add_nc_u32_e32 v16, s6, v10
	v_add_nc_u32_e32 v30, s2, v16
	s_delay_alu instid0(VALU_DEP_1) | instskip(NEXT) | instid1(VALU_DEP_1)
	v_add_nc_u32_e32 v35, s2, v30
	v_ashrrev_i32_e32 v36, 31, v35
	s_delay_alu instid0(VALU_DEP_1) | instskip(NEXT) | instid1(VALU_DEP_1)
	v_mad_co_u64_u32 v[28:29], null, s6, -3, v[35:36]
	v_add_nc_u32_e32 v34, s2, v28
	s_delay_alu instid0(VALU_DEP_1) | instskip(SKIP_2) | instid1(VALU_DEP_1)
	v_add_nc_u32_e32 v4, s2, v34
	s_mov_b32 s2, 0x652b82fe
	s_mov_b32 s3, 0x3ff71547
	v_add_nc_u32_e32 v5, s6, v4
	s_delay_alu instid0(VALU_DEP_1) | instskip(SKIP_1) | instid1(VALU_DEP_2)
	v_ashrrev_i32_e32 v6, 31, v5
	v_add_nc_u32_e32 v39, s6, v5
	v_lshlrev_b64_e32 v[37:38], 3, v[5:6]
	s_delay_alu instid0(VALU_DEP_2) | instskip(SKIP_2) | instid1(VALU_DEP_3)
	v_ashrrev_i32_e32 v40, 31, v39
	v_ashrrev_i32_e32 v5, 31, v4
	v_add_nc_u32_e32 v76, s6, v39
	v_lshlrev_b64_e32 v[40:41], 3, v[39:40]
	s_wait_kmcnt 0x0
	v_add_co_u32 v0, vcc_lo, s8, v37
	s_delay_alu instid0(VALU_DEP_1) | instskip(SKIP_1) | instid1(VALU_DEP_4)
	v_add_co_ci_u32_e64 v1, null, s9, v38, vcc_lo
	v_lshlrev_b64_e32 v[58:59], 3, v[4:5]
	v_add_co_u32 v4, vcc_lo, s8, v40
	global_load_b64 v[2:3], v[0:1], off
	s_wait_alu 0xfffd
	v_add_co_ci_u32_e64 v5, null, s9, v41, vcc_lo
	v_add_co_u32 v56, vcc_lo, s8, v58
	s_wait_alu 0xfffd
	v_add_co_ci_u32_e64 v57, null, s9, v59, vcc_lo
	s_clause 0x1
	global_load_b64 v[6:7], v[4:5], off
	global_load_b64 v[26:27], v[56:57], off
	v_ashrrev_i32_e32 v77, 31, v76
	s_wait_loadcnt 0x2
	v_div_scale_f64 v[24:25], null, 0x401c0000, 0x401c0000, v[2:3]
	v_div_scale_f64 v[44:45], vcc_lo, v[2:3], 0x401c0000, v[2:3]
	s_delay_alu instid0(VALU_DEP_2) | instskip(NEXT) | instid1(TRANS32_DEP_1)
	v_rcp_f64_e32 v[31:32], v[24:25]
	v_fma_f64 v[42:43], -v[24:25], v[31:32], 1.0
	s_delay_alu instid0(VALU_DEP_1) | instskip(NEXT) | instid1(VALU_DEP_1)
	v_fma_f64 v[31:32], v[31:32], v[42:43], v[31:32]
	v_fma_f64 v[42:43], -v[24:25], v[31:32], 1.0
	s_delay_alu instid0(VALU_DEP_1) | instskip(NEXT) | instid1(VALU_DEP_1)
	v_fma_f64 v[31:32], v[31:32], v[42:43], v[31:32]
	v_mul_f64_e32 v[42:43], v[44:45], v[31:32]
	s_delay_alu instid0(VALU_DEP_1) | instskip(SKIP_1) | instid1(VALU_DEP_1)
	v_fma_f64 v[24:25], -v[24:25], v[42:43], v[44:45]
	s_wait_alu 0xfffd
	v_div_fmas_f64 v[24:25], v[24:25], v[31:32], v[42:43]
	s_delay_alu instid0(VALU_DEP_1) | instskip(SKIP_1) | instid1(VALU_DEP_1)
	v_div_fixup_f64 v[170:171], v[24:25], 0x401c0000, v[2:3]
	s_wait_alu 0xfffe
	v_add_f64_e64 v[42:43], -v[170:171], s[0:1]
	s_delay_alu instid0(VALU_DEP_1) | instskip(NEXT) | instid1(VALU_DEP_1)
	v_mul_f64_e32 v[24:25], s[2:3], v[42:43]
	v_rndne_f64_e32 v[24:25], v[24:25]
	s_delay_alu instid0(VALU_DEP_1) | instskip(SKIP_1) | instid1(VALU_DEP_2)
	v_fma_f64 v[31:32], v[24:25], s[4:5], v[42:43]
	v_cvt_i32_f64_e32 v9, v[24:25]
	v_fma_f64 v[31:32], v[24:25], s[16:17], v[31:32]
	s_delay_alu instid0(VALU_DEP_1) | instskip(NEXT) | instid1(VALU_DEP_1)
	v_fma_f64 v[44:45], v[31:32], s[20:21], s[18:19]
	v_fma_f64 v[44:45], v[31:32], v[44:45], s[22:23]
	s_delay_alu instid0(VALU_DEP_1) | instskip(NEXT) | instid1(VALU_DEP_1)
	v_fma_f64 v[44:45], v[31:32], v[44:45], s[24:25]
	;; [unrolled: 3-line block ×5, first 2 shown]
	v_fma_f64 v[44:45], v[31:32], v[44:45], 1.0
	s_delay_alu instid0(VALU_DEP_1) | instskip(SKIP_1) | instid1(VALU_DEP_2)
	v_fma_f64 v[24:25], v[31:32], v[44:45], 1.0
	v_div_scale_f64 v[44:45], null, 0x40240000, 0x40240000, v[2:3]
	v_ldexp_f64 v[24:25], v[24:25], v9
	s_delay_alu instid0(VALU_DEP_2) | instskip(NEXT) | instid1(VALU_DEP_1)
	v_rcp_f64_e32 v[48:49], v[44:45]
	v_add_f64_e32 v[24:25], 1.0, v[24:25]
	s_delay_alu instid0(TRANS32_DEP_1) | instskip(NEXT) | instid1(VALU_DEP_2)
	v_fma_f64 v[52:53], -v[44:45], v[48:49], 1.0
	v_div_scale_f64 v[31:32], null, v[24:25], v[24:25], 1.0
	v_div_scale_f64 v[54:55], vcc_lo, 1.0, v[24:25], 1.0
	s_delay_alu instid0(VALU_DEP_3) | instskip(NEXT) | instid1(VALU_DEP_3)
	v_fma_f64 v[48:49], v[48:49], v[52:53], v[48:49]
	v_rcp_f64_e32 v[46:47], v[31:32]
	s_delay_alu instid0(VALU_DEP_1) | instskip(NEXT) | instid1(TRANS32_DEP_1)
	v_fma_f64 v[52:53], -v[44:45], v[48:49], 1.0
	v_fma_f64 v[50:51], -v[31:32], v[46:47], 1.0
	s_delay_alu instid0(VALU_DEP_2) | instskip(NEXT) | instid1(VALU_DEP_2)
	v_fma_f64 v[48:49], v[48:49], v[52:53], v[48:49]
	v_fma_f64 v[46:47], v[46:47], v[50:51], v[46:47]
	s_delay_alu instid0(VALU_DEP_1) | instskip(NEXT) | instid1(VALU_DEP_1)
	v_fma_f64 v[50:51], -v[31:32], v[46:47], 1.0
	v_fma_f64 v[46:47], v[46:47], v[50:51], v[46:47]
	v_div_scale_f64 v[50:51], s0, v[2:3], 0x40240000, v[2:3]
	s_delay_alu instid0(VALU_DEP_2) | instskip(NEXT) | instid1(VALU_DEP_2)
	v_mul_f64_e32 v[52:53], v[54:55], v[46:47]
	v_mul_f64_e32 v[60:61], v[50:51], v[48:49]
	s_delay_alu instid0(VALU_DEP_2) | instskip(NEXT) | instid1(VALU_DEP_2)
	v_fma_f64 v[31:32], -v[31:32], v[52:53], v[54:55]
	v_fma_f64 v[44:45], -v[44:45], v[60:61], v[50:51]
	s_wait_alu 0xfffd
	s_delay_alu instid0(VALU_DEP_2) | instskip(SKIP_3) | instid1(VALU_DEP_2)
	v_div_fmas_f64 v[46:47], v[31:32], v[46:47], v[52:53]
	s_mov_b32 vcc_lo, s0
	s_mov_b32 s0, 0x590b2162
	s_wait_alu 0xfffe
	v_div_fmas_f64 v[31:32], v[44:45], v[48:49], v[60:61]
	s_mov_b32 s1, 0x3fb642c8
	s_wait_alu 0xfffe
	v_mul_f64_e32 v[48:49], s[0:1], v[2:3]
	s_mov_b32 s0, 0x5e29ac20
	s_mov_b32 s1, 0x402b29a3
	s_delay_alu instid0(VALU_DEP_3) | instskip(NEXT) | instid1(VALU_DEP_3)
	v_div_fixup_f64 v[46:47], v[46:47], v[24:25], 1.0
	v_div_fixup_f64 v[168:169], v[31:32], 0x40240000, v[2:3]
	s_delay_alu instid0(VALU_DEP_3) | instskip(NEXT) | instid1(VALU_DEP_2)
	v_mul_f64_e32 v[50:51], s[2:3], v[48:49]
	v_add_f64_e64 v[44:45], 0xc0120000, -v[168:169]
	s_delay_alu instid0(VALU_DEP_2) | instskip(NEXT) | instid1(VALU_DEP_2)
	v_rndne_f64_e32 v[50:51], v[50:51]
	v_mul_f64_e32 v[31:32], s[2:3], v[44:45]
	v_cmp_nlt_f64_e64 s3, 0x40900000, v[48:49]
	v_cmp_ngt_f64_e64 s2, 0xc090cc00, v[44:45]
	s_delay_alu instid0(VALU_DEP_4) | instskip(SKIP_2) | instid1(VALU_DEP_3)
	v_fma_f64 v[54:55], v[50:51], s[4:5], v[48:49]
	v_cvt_i32_f64_e32 v13, v[50:51]
	v_rndne_f64_e32 v[31:32], v[31:32]
	v_fma_f64 v[54:55], v[50:51], s[16:17], v[54:55]
	s_delay_alu instid0(VALU_DEP_2) | instskip(SKIP_2) | instid1(VALU_DEP_4)
	v_fma_f64 v[52:53], v[31:32], s[4:5], v[44:45]
	v_cvt_i32_f64_e32 v9, v[31:32]
	v_cmp_ngt_f64_e64 s4, 0xc090cc00, v[48:49]
	v_fma_f64 v[62:63], v[54:55], s[20:21], s[18:19]
	s_delay_alu instid0(VALU_DEP_4) | instskip(SKIP_2) | instid1(VALU_DEP_2)
	v_fma_f64 v[52:53], v[31:32], s[16:17], v[52:53]
	s_mov_b32 s16, 0xe2308c3a
	s_mov_b32 s17, 0x3e45798e
	v_fma_f64 v[62:63], v[54:55], v[62:63], s[22:23]
	s_delay_alu instid0(VALU_DEP_2) | instskip(SKIP_1) | instid1(VALU_DEP_2)
	v_fma_f64 v[60:61], v[52:53], s[20:21], s[18:19]
	s_lshl_b64 s[18:19], s[6:7], 3
	v_fma_f64 v[62:63], v[54:55], v[62:63], s[24:25]
	s_delay_alu instid0(VALU_DEP_2) | instskip(NEXT) | instid1(VALU_DEP_2)
	v_fma_f64 v[60:61], v[52:53], v[60:61], s[22:23]
	v_fma_f64 v[62:63], v[54:55], v[62:63], s[26:27]
	s_delay_alu instid0(VALU_DEP_2) | instskip(NEXT) | instid1(VALU_DEP_2)
	v_fma_f64 v[60:61], v[52:53], v[60:61], s[24:25]
	;; [unrolled: 3-line block ×7, first 2 shown]
	v_fma_f64 v[62:63], v[54:55], v[62:63], 1.0
	s_delay_alu instid0(VALU_DEP_2) | instskip(NEXT) | instid1(VALU_DEP_2)
	v_fma_f64 v[60:61], v[52:53], v[60:61], s[38:39]
	v_fma_f64 v[50:51], v[54:55], v[62:63], 1.0
	s_delay_alu instid0(VALU_DEP_2) | instskip(NEXT) | instid1(VALU_DEP_2)
	v_fma_f64 v[60:61], v[52:53], v[60:61], 1.0
	v_ldexp_f64 v[50:51], v[50:51], v13
	v_ashrrev_i32_e32 v13, 31, v12
	s_delay_alu instid0(VALU_DEP_1) | instskip(NEXT) | instid1(VALU_DEP_1)
	v_lshlrev_b64_e32 v[70:71], 3, v[12:13]
	v_add_co_u32 v180, vcc_lo, s8, v70
	s_wait_alu 0xfffd
	s_delay_alu instid0(VALU_DEP_2) | instskip(SKIP_4) | instid1(VALU_DEP_3)
	v_add_co_ci_u32_e64 v181, null, s9, v71, vcc_lo
	v_fma_f64 v[31:32], v[52:53], v[60:61], 1.0
	s_wait_alu 0xfffe
	v_fma_f64 v[50:51], v[50:51], s[0:1], 1.0
	v_cmp_nlt_f64_e64 s1, 0x40900000, v[44:45]
	v_ldexp_f64 v[31:32], v[31:32], v9
	s_delay_alu instid0(VALU_DEP_3) | instskip(NEXT) | instid1(VALU_DEP_2)
	v_div_scale_f64 v[60:61], null, v[50:51], v[50:51], 0x40180000
	v_add_f64_e32 v[52:53], 1.0, v[31:32]
	global_load_b64 v[32:33], v[180:181], off
	v_ashrrev_i32_e32 v31, 31, v30
	v_rcp_f64_e32 v[64:65], v[60:61]
	s_delay_alu instid0(VALU_DEP_1) | instskip(SKIP_1) | instid1(TRANS32_DEP_1)
	v_lshlrev_b64_e32 v[29:30], 3, v[30:31]
	v_div_scale_f64 v[54:55], null, v[52:53], v[52:53], 0x407c2000
	v_fma_f64 v[68:69], -v[60:61], v[64:65], 1.0
	s_delay_alu instid0(VALU_DEP_2) | instskip(NEXT) | instid1(TRANS32_DEP_1)
	v_rcp_f64_e32 v[62:63], v[54:55]
	v_fma_f64 v[66:67], -v[54:55], v[62:63], 1.0
	s_delay_alu instid0(VALU_DEP_1) | instskip(NEXT) | instid1(VALU_DEP_3)
	v_fma_f64 v[12:13], v[62:63], v[66:67], v[62:63]
	v_fma_f64 v[62:63], v[64:65], v[68:69], v[64:65]
	v_div_scale_f64 v[68:69], vcc_lo, 0x407c2000, v[52:53], 0x407c2000
	s_delay_alu instid0(VALU_DEP_3) | instskip(NEXT) | instid1(VALU_DEP_3)
	v_fma_f64 v[64:65], -v[54:55], v[12:13], 1.0
	v_fma_f64 v[66:67], -v[60:61], v[62:63], 1.0
	s_delay_alu instid0(VALU_DEP_2) | instskip(SKIP_1) | instid1(VALU_DEP_3)
	v_fma_f64 v[12:13], v[12:13], v[64:65], v[12:13]
	v_div_scale_f64 v[64:65], s0, 0x40180000, v[50:51], 0x40180000
	v_fma_f64 v[62:63], v[62:63], v[66:67], v[62:63]
	s_delay_alu instid0(VALU_DEP_3) | instskip(NEXT) | instid1(VALU_DEP_2)
	v_mul_f64_e32 v[66:67], v[68:69], v[12:13]
	v_mul_f64_e32 v[72:73], v[64:65], v[62:63]
	s_delay_alu instid0(VALU_DEP_2) | instskip(SKIP_2) | instid1(VALU_DEP_4)
	v_fma_f64 v[54:55], -v[54:55], v[66:67], v[68:69]
	v_lshlrev_b64_e32 v[68:69], 3, v[35:36]
	v_ashrrev_i32_e32 v35, 31, v34
	v_fma_f64 v[60:61], -v[60:61], v[72:73], v[64:65]
	s_wait_alu 0xfffd
	s_delay_alu instid0(VALU_DEP_4) | instskip(SKIP_3) | instid1(VALU_DEP_3)
	v_div_fmas_f64 v[12:13], v[54:55], v[12:13], v[66:67]
	s_mov_b32 vcc_lo, s0
	v_cmp_ngt_f64_e64 s0, 0xc090cc00, v[42:43]
	s_wait_alu 0xfffe
	v_div_fmas_f64 v[54:55], v[60:61], v[62:63], v[72:73]
	s_delay_alu instid0(VALU_DEP_3) | instskip(SKIP_1) | instid1(VALU_DEP_3)
	v_div_fixup_f64 v[52:53], v[12:13], v[52:53], 0x407c2000
	v_ashrrev_i32_e32 v12, 31, v11
	v_div_fixup_f64 v[50:51], v[54:55], v[50:51], 0x40180000
	s_delay_alu instid0(VALU_DEP_2) | instskip(NEXT) | instid1(VALU_DEP_1)
	v_lshlrev_b64_e32 v[11:12], 3, v[11:12]
	v_add_co_u32 v174, vcc_lo, s8, v11
	s_wait_alu 0xfffd
	s_delay_alu instid0(VALU_DEP_2)
	v_add_co_ci_u32_e64 v175, null, s9, v12, vcc_lo
	v_add_co_u32 v54, vcc_lo, s14, v70
	s_wait_alu 0xfffd
	v_add_co_ci_u32_e64 v55, null, s15, v71, vcc_lo
	v_add_co_u32 v60, vcc_lo, s14, v11
	s_wait_alu 0xfffd
	;; [unrolled: 3-line block ×3, first 2 shown]
	v_add_co_ci_u32_e64 v185, null, s9, v22, vcc_lo
	v_cmp_nlt_f64_e32 vcc_lo, 0x40900000, v[42:43]
	v_add_co_u32 v21, s5, s14, v21
	s_wait_alu 0xf1ff
	v_add_co_ci_u32_e64 v22, null, s15, v22, s5
	v_add_co_u32 v166, s5, v180, s18
	s_wait_alu 0xf1ff
	v_add_co_ci_u32_e64 v167, null, s19, v181, s5
	v_lshlrev_b64_e32 v[42:43], 3, v[18:19]
	v_ashrrev_i32_e32 v18, 31, v17
	s_clause 0x2
	global_load_b64 v[12:13], v[166:167], off
	global_load_b64 v[78:79], v[174:175], off
	;; [unrolled: 1-line block ×3, first 2 shown]
	v_add_co_u32 v44, s5, v54, s18
	s_wait_alu 0xf1ff
	v_add_co_ci_u32_e64 v45, null, s19, v55, s5
	v_cndmask_b32_e64 v15, 0, v53, s1
	v_cndmask_b32_e64 v25, 0, v51, s3
	s_delay_alu instid0(VALU_DEP_1)
	v_cndmask_b32_e64 v51, 0x40180000, v25, s4
	s_wait_alu 0xfffd
	v_cndmask_b32_e32 v11, 0, v47, vcc_lo
	v_lshlrev_b64_e32 v[47:48], 3, v[17:18]
	global_load_b64 v[17:18], v[54:55], off
	s_and_b32 vcc_lo, s0, vcc_lo
	v_ashrrev_i32_e32 v9, 31, v8
	s_delay_alu instid0(VALU_DEP_1)
	v_lshlrev_b64_e32 v[8:9], 3, v[8:9]
	s_wait_loadcnt 0x0
	scratch_store_b64 off, v[17:18], off offset:64 ; 8-byte Folded Spill
	global_load_b64 v[17:18], v[44:45], off
	v_cndmask_b32_e64 v45, 0x407c2000, v15, s2
	v_ashrrev_i32_e32 v15, 31, v14
	s_delay_alu instid0(VALU_DEP_1)
	v_lshlrev_b64_e32 v[14:15], 3, v[14:15]
	s_wait_loadcnt 0x0
	scratch_store_b64 off, v[17:18], off offset:32 ; 8-byte Folded Spill
	global_load_b64 v[17:18], v[60:61], off
	s_wait_loadcnt 0x0
	scratch_store_b64 off, v[17:18], off offset:24 ; 8-byte Folded Spill
	global_load_b64 v[17:18], v[21:22], off
	s_wait_alu 0xfffe
	v_cndmask_b32_e32 v21, 0, v46, vcc_lo
	s_and_b32 vcc_lo, s2, s1
	v_cndmask_b32_e64 v22, 0x3ff00000, v11, s0
	s_wait_alu 0xfffe
	v_cndmask_b32_e32 v44, 0, v52, vcc_lo
	s_and_b32 vcc_lo, s4, s3
	v_ashrrev_i32_e32 v11, 31, v10
	s_wait_alu 0xfffe
	v_cndmask_b32_e32 v50, 0, v50, vcc_lo
	v_ashrrev_i32_e32 v24, 31, v23
	v_add_co_u32 v178, vcc_lo, s8, v42
	s_wait_alu 0xfffd
	v_add_co_ci_u32_e64 v179, null, s9, v43, vcc_lo
	s_delay_alu instid0(VALU_DEP_3) | instskip(SKIP_4) | instid1(VALU_DEP_4)
	v_lshlrev_b64_e32 v[23:24], 3, v[23:24]
	v_add_co_u32 v42, vcc_lo, s14, v42
	s_wait_alu 0xfffd
	v_add_co_ci_u32_e64 v43, null, s15, v43, vcc_lo
	v_add_co_u32 v176, vcc_lo, s8, v47
	v_add_co_u32 v182, s5, s8, v23
	s_wait_alu 0xf1ff
	v_add_co_ci_u32_e64 v183, null, s9, v24, s5
	v_add_co_u32 v23, s5, s14, v23
	v_mul_f64_e32 v[70:71], v[44:45], v[50:51]
	s_wait_alu 0xfffd
	v_add_co_ci_u32_e64 v177, null, s9, v48, vcc_lo
	v_add_co_u32 v44, vcc_lo, s14, v47
	s_wait_alu 0xf1ff
	v_add_co_ci_u32_e64 v24, null, s15, v24, s5
	v_add_f64_e64 v[66:67], v[21:22], -v[32:33]
	v_ashrrev_i32_e32 v21, 31, v20
	s_wait_alu 0xfffd
	v_add_co_ci_u32_e64 v45, null, s15, v48, vcc_lo
	v_add_co_u32 v172, vcc_lo, s8, v8
	s_wait_alu 0xfffd
	v_add_co_ci_u32_e64 v173, null, s9, v9, vcc_lo
	v_lshlrev_b64_e32 v[50:51], 3, v[20:21]
	v_add_co_u32 v8, vcc_lo, s14, v8
	s_wait_alu 0xfffd
	v_add_co_ci_u32_e64 v9, null, s15, v9, vcc_lo
	v_add_co_u32 v164, vcc_lo, s8, v14
	s_wait_alu 0xfffd
	v_add_co_ci_u32_e64 v165, null, s9, v15, vcc_lo
	;; [unrolled: 3-line block ×4, first 2 shown]
	v_div_scale_f64 v[62:63], null, v[70:71], v[70:71], -1.0
	v_div_scale_f64 v[60:61], null, v[70:71], v[70:71], v[66:67]
	s_delay_alu instid0(VALU_DEP_2) | instskip(NEXT) | instid1(VALU_DEP_1)
	v_rcp_f64_e32 v[74:75], v[62:63]
	v_rcp_f64_e32 v[72:73], v[60:61]
	s_wait_loadcnt 0x0
	scratch_store_b64 off, v[17:18], off offset:8 ; 8-byte Folded Spill
	s_clause 0x3
	global_load_b64 v[84:85], v[182:183], off
	global_load_b64 v[20:21], v[178:179], off
	;; [unrolled: 1-line block ×5, first 2 shown]
	s_wait_loadcnt 0x0
	scratch_store_b64 off, v[17:18], off offset:72 ; 8-byte Folded Spill
	s_clause 0x2
	global_load_b64 v[22:23], v[42:43], off
	global_load_b64 v[54:55], v[44:45], off
	;; [unrolled: 1-line block ×3, first 2 shown]
	v_ashrrev_i32_e32 v17, 31, v16
	s_delay_alu instid0(VALU_DEP_1)
	v_lshlrev_b64_e32 v[16:17], 3, v[16:17]
	s_wait_loadcnt 0x0
	scratch_store_b64 off, v[8:9], off      ; 8-byte Folded Spill
	v_lshlrev_b64_e32 v[8:9], 3, v[10:11]
	v_add_co_u32 v10, vcc_lo, s14, v50
	s_wait_alu 0xfffd
	v_add_co_ci_u32_e64 v11, null, s15, v51, vcc_lo
	s_delay_alu instid0(VALU_DEP_3)
	v_add_co_u32 v146, vcc_lo, s8, v8
	s_wait_alu 0xfffd
	v_add_co_ci_u32_e64 v147, null, s9, v9, vcc_lo
	v_add_co_u32 v64, vcc_lo, s14, v8
	s_wait_alu 0xfffd
	v_add_co_ci_u32_e64 v65, null, s15, v9, vcc_lo
	;; [unrolled: 3-line block ×3, first 2 shown]
	s_clause 0x3
	global_load_b64 v[50:51], v[164:165], off
	global_load_b64 v[52:53], v[162:163], off
	;; [unrolled: 1-line block ×4, first 2 shown]
	s_clause 0x1
	global_load_b64 v[14:15], v[14:15], off
	global_load_b64 v[10:11], v[10:11], off
	v_add_co_u32 v16, vcc_lo, s14, v16
	s_wait_alu 0xfffd
	v_add_co_ci_u32_e64 v17, null, s15, v17, vcc_lo
	v_add_co_u32 v130, vcc_lo, s8, v29
	s_wait_alu 0xfffd
	v_add_co_ci_u32_e64 v131, null, s9, v30, vcc_lo
	s_wait_loadcnt 0x1
	scratch_store_b64 off, v[14:15], off offset:16 ; 8-byte Folded Spill
	s_wait_loadcnt 0x0
	scratch_store_b64 off, v[10:11], off offset:80 ; 8-byte Folded Spill
	global_load_b64 v[10:11], v[64:65], off
	v_fma_f64 v[64:65], -v[60:61], v[72:73], 1.0
	s_wait_loadcnt 0x0
	scratch_store_b64 off, v[10:11], off offset:88 ; 8-byte Folded Spill
	global_load_b64 v[10:11], v[16:17], off
	s_wait_loadcnt 0x0
	scratch_store_b64 off, v[10:11], off offset:96 ; 8-byte Folded Spill
	v_add_co_u32 v10, vcc_lo, s14, v29
	v_ashrrev_i32_e32 v29, 31, v28
	s_wait_alu 0xfffd
	v_add_co_ci_u32_e64 v11, null, s15, v30, vcc_lo
	v_add_co_u32 v120, vcc_lo, s8, v68
	s_delay_alu instid0(VALU_DEP_3)
	v_lshlrev_b64_e32 v[14:15], 3, v[28:29]
	s_wait_alu 0xfffd
	v_add_co_ci_u32_e64 v121, null, s9, v69, vcc_lo
	v_add_co_u32 v16, vcc_lo, s14, v68
	s_wait_alu 0xfffd
	v_add_co_ci_u32_e64 v17, null, s15, v69, vcc_lo
	v_lshlrev_b64_e32 v[28:29], 3, v[34:35]
	v_fma_f64 v[68:69], -v[62:63], v[74:75], 1.0
	v_add_co_u32 v110, vcc_lo, s8, v14
	s_wait_alu 0xfffd
	v_add_co_ci_u32_e64 v111, null, s9, v15, vcc_lo
	v_add_co_u32 v14, vcc_lo, s14, v14
	s_wait_alu 0xfffd
	v_add_co_ci_u32_e64 v15, null, s15, v15, vcc_lo
	v_add_co_u32 v90, vcc_lo, s8, v28
	s_wait_alu 0xfffd
	v_add_co_ci_u32_e64 v91, null, s9, v29, vcc_lo
	v_add_co_u32 v34, vcc_lo, s14, v28
	s_wait_alu 0xfffd
	v_add_co_ci_u32_e64 v35, null, s15, v29, vcc_lo
	s_clause 0x3
	global_load_b64 v[28:29], v[14:15], off
	global_load_b64 v[30:31], v[10:11], off
	;; [unrolled: 1-line block ×4, first 2 shown]
	v_add_nc_u32_e32 v14, s6, v76
	v_add_co_u32 v10, vcc_lo, s14, v58
	s_wait_alu 0xfffd
	v_add_co_ci_u32_e64 v11, null, s15, v59, vcc_lo
	s_delay_alu instid0(VALU_DEP_3)
	v_add_nc_u32_e32 v36, s6, v14
	v_add_co_u32 v16, vcc_lo, s14, v37
	s_wait_alu 0xfffd
	v_add_co_ci_u32_e64 v17, null, s15, v38, vcc_lo
	v_lshlrev_b64_e32 v[34:35], 3, v[76:77]
	v_add_co_u32 v38, vcc_lo, s14, v40
	v_add_nc_u32_e32 v40, s6, v36
	v_ashrrev_i32_e32 v15, 31, v14
	v_ashrrev_i32_e32 v37, 31, v36
	s_wait_alu 0xfffd
	v_add_co_ci_u32_e64 v39, null, s15, v41, vcc_lo
	v_add_nc_u32_e32 v82, s6, v40
	v_add_co_u32 v58, vcc_lo, s14, v34
	v_lshlrev_b64_e32 v[14:15], 3, v[14:15]
	s_wait_alu 0xfffd
	v_add_co_ci_u32_e64 v59, null, s15, v35, vcc_lo
	v_lshlrev_b64_e32 v[76:77], 3, v[36:37]
	s_clause 0x3
	global_load_b64 v[34:35], v[10:11], off
	global_load_b64 v[36:37], v[16:17], off
	;; [unrolled: 1-line block ×4, first 2 shown]
	v_add_nc_u32_e32 v38, s6, v82
	v_ashrrev_i32_e32 v41, 31, v40
	v_ashrrev_i32_e32 v83, 31, v82
	v_add_co_u32 v10, vcc_lo, s14, v14
	v_fma_f64 v[58:59], v[74:75], v[68:69], v[74:75]
	v_add_nc_u32_e32 v68, s6, v38
	s_wait_alu 0xfffd
	v_add_co_ci_u32_e64 v11, null, s15, v15, vcc_lo
	v_lshlrev_b64_e32 v[14:15], 3, v[40:41]
	v_ashrrev_i32_e32 v39, 31, v38
	v_fma_f64 v[16:17], v[72:73], v[64:65], v[72:73]
	v_lshlrev_b64_e32 v[64:65], 3, v[82:83]
	v_add_co_u32 v40, vcc_lo, s14, v76
	v_add_nc_u32_e32 v72, s6, v68
	v_ashrrev_i32_e32 v69, 31, v68
	s_wait_alu 0xfffd
	v_add_co_ci_u32_e64 v41, null, s15, v77, vcc_lo
	v_add_co_u32 v14, vcc_lo, s14, v14
	v_lshlrev_b64_e32 v[38:39], 3, v[38:39]
	s_wait_alu 0xfffd
	v_add_co_ci_u32_e64 v15, null, s15, v15, vcc_lo
	v_add_co_u32 v64, vcc_lo, s14, v64
	v_ashrrev_i32_e32 v73, 31, v72
	s_wait_alu 0xfffd
	v_add_co_ci_u32_e64 v65, null, s15, v65, vcc_lo
	v_lshlrev_b64_e32 v[68:69], 3, v[68:69]
	s_clause 0x3
	global_load_b64 v[10:11], v[10:11], off
	global_load_b64 v[148:149], v[40:41], off
	;; [unrolled: 1-line block ×4, first 2 shown]
	v_add_co_u32 v14, vcc_lo, s14, v38
	s_wait_alu 0xfffd
	v_add_co_ci_u32_e64 v15, null, s15, v39, vcc_lo
	v_lshlrev_b64_e32 v[38:39], 3, v[72:73]
	v_add_co_u32 v68, vcc_lo, s14, v68
	s_wait_alu 0xfffd
	v_add_co_ci_u32_e64 v69, null, s15, v69, vcc_lo
	v_add_nc_u32_e32 v74, s6, v72
	s_delay_alu instid0(VALU_DEP_4)
	v_add_co_u32 v82, vcc_lo, s14, v38
	s_wait_alu 0xfffd
	v_add_co_ci_u32_e64 v83, null, s15, v39, vcc_lo
	s_clause 0x1
	global_load_b64 v[38:39], v[14:15], off
	global_load_b64 v[14:15], v[68:69], off
	v_fma_f64 v[72:73], -v[62:63], v[58:59], 1.0
	v_add_nc_u32_e32 v40, s6, v74
	v_ashrrev_i32_e32 v75, 31, v74
	v_fma_f64 v[64:65], -v[60:61], v[16:17], 1.0
	s_delay_alu instid0(VALU_DEP_3) | instskip(SKIP_1) | instid1(VALU_DEP_4)
	v_add_nc_u32_e32 v76, s6, v40
	v_ashrrev_i32_e32 v41, 31, v40
	v_lshlrev_b64_e32 v[74:75], 3, v[74:75]
	s_delay_alu instid0(VALU_DEP_3) | instskip(SKIP_1) | instid1(VALU_DEP_4)
	v_add_nc_u32_e32 v88, s6, v76
	v_ashrrev_i32_e32 v77, 31, v76
	v_lshlrev_b64_e32 v[40:41], 3, v[40:41]
	s_delay_alu instid0(VALU_DEP_4) | instskip(NEXT) | instid1(VALU_DEP_4)
	v_add_co_u32 v74, vcc_lo, s14, v74
	v_add_nc_u32_e32 v92, s6, v88
	s_delay_alu instid0(VALU_DEP_4)
	v_lshlrev_b64_e32 v[76:77], 3, v[76:77]
	v_ashrrev_i32_e32 v89, 31, v88
	s_wait_alu 0xfffd
	v_add_co_ci_u32_e64 v75, null, s15, v75, vcc_lo
	v_add_nc_u32_e32 v68, s6, v92
	v_ashrrev_i32_e32 v93, 31, v92
	s_delay_alu instid0(VALU_DEP_2) | instskip(SKIP_1) | instid1(VALU_DEP_3)
	v_ashrrev_i32_e32 v69, 31, v68
	v_fma_f64 v[58:59], v[58:59], v[72:73], v[58:59]
	v_lshlrev_b64_e32 v[72:73], 3, v[92:93]
	v_fma_f64 v[16:17], v[16:17], v[64:65], v[16:17]
	v_add_co_u32 v64, s1, s14, v76
	v_add_nc_u32_e32 v76, s6, v68
	s_wait_alu 0xf1ff
	v_add_co_ci_u32_e64 v65, null, s15, v77, s1
	v_lshlrev_b64_e32 v[68:69], 3, v[68:69]
	s_delay_alu instid0(VALU_DEP_3)
	v_ashrrev_i32_e32 v77, 31, v76
	s_wait_loadcnt 0x0
	scratch_store_b64 off, v[14:15], off offset:112 ; 8-byte Folded Spill
	v_add_co_u32 v14, vcc_lo, s14, v40
	s_wait_alu 0xfffd
	v_add_co_ci_u32_e64 v15, null, s15, v41, vcc_lo
	v_lshlrev_b64_e32 v[40:41], 3, v[88:89]
	v_add_nc_u32_e32 v88, s6, v76
	v_lshlrev_b64_e32 v[76:77], 3, v[76:77]
	s_clause 0x1
	global_load_b64 v[150:151], v[82:83], off
	global_load_b64 v[124:125], v[74:75], off
	v_div_scale_f64 v[74:75], vcc_lo, v[66:67], v[70:71], v[66:67]
	v_add_co_u32 v40, s1, s14, v40
	v_add_nc_u32_e32 v92, s6, v88
	s_wait_alu 0xf1ff
	v_add_co_ci_u32_e64 v41, null, s15, v41, s1
	v_add_co_u32 v72, s1, s14, v72
	s_wait_alu 0xf1ff
	v_add_co_ci_u32_e64 v73, null, s15, v73, s1
	s_clause 0x3
	global_load_b64 v[108:109], v[14:15], off
	global_load_b64 v[154:155], v[64:65], off
	;; [unrolled: 1-line block ×4, first 2 shown]
	v_add_nc_u32_e32 v64, s6, v92
	v_ashrrev_i32_e32 v89, 31, v88
	v_add_co_u32 v14, s1, s14, v68
	v_ashrrev_i32_e32 v93, 31, v92
	s_wait_alu 0xf1ff
	v_add_co_ci_u32_e64 v15, null, s15, v69, s1
	v_add_co_u32 v68, s1, s14, v76
	v_add_nc_u32_e32 v76, s6, v64
	v_lshlrev_b64_e32 v[40:41], 3, v[88:89]
	v_ashrrev_i32_e32 v65, 31, v64
	v_lshlrev_b64_e32 v[72:73], 3, v[92:93]
	s_wait_alu 0xf1ff
	v_add_co_ci_u32_e64 v69, null, s15, v77, s1
	v_ashrrev_i32_e32 v77, 31, v76
	v_add_co_u32 v40, s1, s14, v40
	v_lshlrev_b64_e32 v[64:65], 3, v[64:65]
	s_wait_alu 0xf1ff
	v_add_co_ci_u32_e64 v41, null, s15, v41, s1
	v_add_nc_u32_e32 v94, s6, v76
	v_add_co_u32 v72, s1, s14, v72
	v_lshlrev_b64_e32 v[76:77], 3, v[76:77]
	s_wait_alu 0xf1ff
	v_add_co_ci_u32_e64 v73, null, s15, v73, s1
	s_clause 0x3
	global_load_b64 v[104:105], v[14:15], off
	global_load_b64 v[100:101], v[68:69], off
	;; [unrolled: 1-line block ×4, first 2 shown]
	v_add_co_u32 v14, s1, s14, v64
	s_wait_alu 0xf1ff
	v_add_co_ci_u32_e64 v15, null, s15, v65, s1
	v_add_co_u32 v68, s1, s14, v76
	s_wait_alu 0xf1ff
	v_add_co_ci_u32_e64 v69, null, s15, v77, s1
	s_clause 0x1
	global_load_b64 v[126:127], v[14:15], off
	global_load_b64 v[14:15], v[68:69], off
	v_ashrrev_i32_e32 v95, 31, v94
	v_mul_f64_e32 v[88:89], v[74:75], v[16:17]
	v_add_nc_u32_e32 v96, s6, v94
	v_div_scale_f64 v[82:83], s0, -1.0, v[70:71], -1.0
	s_delay_alu instid0(VALU_DEP_4) | instskip(NEXT) | instid1(VALU_DEP_3)
	v_lshlrev_b64_e32 v[40:41], 3, v[94:95]
	v_add_nc_u32_e32 v64, s6, v96
	v_ashrrev_i32_e32 v97, 31, v96
	s_delay_alu instid0(VALU_DEP_3) | instskip(SKIP_1) | instid1(VALU_DEP_4)
	v_add_co_u32 v40, s1, s14, v40
	s_wait_alu 0xf1ff
	v_add_co_ci_u32_e64 v41, null, s15, v41, s1
	v_add_nc_u32_e32 v76, s6, v64
	v_lshlrev_b64_e32 v[72:73], 3, v[96:97]
	v_ashrrev_i32_e32 v65, 31, v64
	s_delay_alu instid0(VALU_DEP_3) | instskip(NEXT) | instid1(VALU_DEP_3)
	v_ashrrev_i32_e32 v77, 31, v76
	v_add_co_u32 v72, s1, s14, v72
	s_delay_alu instid0(VALU_DEP_3)
	v_lshlrev_b64_e32 v[64:65], 3, v[64:65]
	s_wait_alu 0xf1ff
	v_add_co_ci_u32_e64 v73, null, s15, v73, s1
	global_load_b64 v[134:135], v[72:73], off
	v_fma_f64 v[60:61], -v[60:61], v[88:89], v[74:75]
	v_add_nc_u32_e32 v74, s6, v76
	v_lshlrev_b64_e32 v[76:77], 3, v[76:77]
	v_mul_f64_e32 v[92:93], v[82:83], v[58:59]
	s_delay_alu instid0(VALU_DEP_3) | instskip(SKIP_3) | instid1(VALU_DEP_3)
	v_ashrrev_i32_e32 v75, 31, v74
	s_wait_alu 0xfffd
	v_div_fmas_f64 v[88:89], v[60:61], v[16:17], v[88:89]
	s_mov_b32 vcc_lo, s0
	v_fma_f64 v[62:63], -v[62:63], v[92:93], v[82:83]
	v_add_nc_u32_e32 v82, s6, v74
	s_delay_alu instid0(VALU_DEP_1) | instskip(NEXT) | instid1(VALU_DEP_1)
	v_ashrrev_i32_e32 v83, 31, v82
	v_lshlrev_b64_e32 v[72:73], 3, v[82:83]
	v_div_fixup_f64 v[66:67], v[88:89], v[70:71], v[66:67]
	s_wait_alu 0xfffe
	v_div_fmas_f64 v[16:17], v[62:63], v[58:59], v[92:93]
	s_delay_alu instid0(VALU_DEP_3)
	v_add_co_u32 v58, vcc_lo, s14, v72
	s_wait_alu 0xfffd
	v_add_co_ci_u32_e64 v59, null, s15, v73, vcc_lo
	s_wait_loadcnt 0x1
	scratch_store_b64 off, v[14:15], off offset:120 ; 8-byte Folded Spill
	global_load_b64 v[14:15], v[40:41], off
	v_lshlrev_b64_e32 v[40:41], 3, v[74:75]
	s_wait_loadcnt 0x0
	scratch_store_b64 off, v[14:15], off offset:104 ; 8-byte Folded Spill
	v_add_co_u32 v14, s1, s14, v64
	s_wait_alu 0xf1ff
	v_add_co_ci_u32_e64 v15, null, s15, v65, s1
	v_add_co_u32 v68, s1, s14, v76
	s_wait_alu 0xf1ff
	v_add_co_ci_u32_e64 v69, null, s15, v77, s1
	s_clause 0x1
	global_load_b64 v[138:139], v[14:15], off
	global_load_b64 v[14:15], v[68:69], off
	v_add_nc_u32_e32 v64, s6, v82
	v_add_co_u32 v40, s1, s14, v40
	s_wait_alu 0xf1ff
	v_add_co_ci_u32_e64 v41, null, s15, v41, s1
	s_delay_alu instid0(VALU_DEP_3) | instskip(SKIP_1) | instid1(VALU_DEP_2)
	v_add_nc_u32_e32 v74, s6, v64
	v_ashrrev_i32_e32 v65, 31, v64
	v_add_nc_u32_e32 v76, s6, v74
	s_delay_alu instid0(VALU_DEP_2) | instskip(SKIP_1) | instid1(VALU_DEP_3)
	v_lshlrev_b64_e32 v[64:65], 3, v[64:65]
	v_ashrrev_i32_e32 v75, 31, v74
	v_add_nc_u32_e32 v62, s6, v76
	v_ashrrev_i32_e32 v77, 31, v76
	s_delay_alu instid0(VALU_DEP_3) | instskip(NEXT) | instid1(VALU_DEP_3)
	v_lshlrev_b64_e32 v[60:61], 3, v[74:75]
	v_ashrrev_i32_e32 v63, 31, v62
	s_wait_loadcnt 0x0
	scratch_store_b64 off, v[14:15], off offset:128 ; 8-byte Folded Spill
	s_clause 0x1
	global_load_b64 v[82:83], v[40:41], off
	global_load_b64 v[14:15], v[58:59], off
	v_add_co_u32 v40, vcc_lo, s14, v64
	v_add_nc_u32_e32 v64, s6, v62
	v_lshlrev_b64_e32 v[58:59], 3, v[76:77]
	s_wait_alu 0xfffd
	v_add_co_ci_u32_e64 v41, null, s15, v65, vcc_lo
	v_lshlrev_b64_e32 v[62:63], 3, v[62:63]
	v_ashrrev_i32_e32 v65, 31, v64
	v_add_co_u32 v60, vcc_lo, s14, v60
	s_wait_alu 0xfffd
	v_add_co_ci_u32_e64 v61, null, s15, v61, vcc_lo
	v_add_co_u32 v58, vcc_lo, s14, v58
	v_lshlrev_b64_e32 v[72:73], 3, v[64:65]
	s_wait_alu 0xfffd
	v_add_co_ci_u32_e64 v59, null, s15, v59, vcc_lo
	v_add_co_u32 v76, vcc_lo, s14, v62
	s_wait_alu 0xfffd
	v_add_co_ci_u32_e64 v77, null, s15, v63, vcc_lo
	v_add_nc_u32_e32 v68, s6, v64
	v_div_fixup_f64 v[64:65], v[16:17], v[70:71], -1.0
	s_clause 0x3
	global_load_b64 v[16:17], v[40:41], off
	global_load_b64 v[60:61], v[60:61], off
	;; [unrolled: 1-line block ×4, first 2 shown]
	v_add_co_u32 v40, vcc_lo, s14, v72
	s_wait_alu 0xfffd
	v_add_co_ci_u32_e64 v41, null, s15, v73, vcc_lo
	v_ashrrev_i32_e32 v69, 31, v68
	v_add_nc_u32_e32 v74, s6, v68
                                        ; implicit-def: $vgpr70_vgpr71
	global_load_b64 v[18:19], v[40:41], off
	v_lshlrev_b64_e32 v[68:69], 3, v[68:69]
	v_ashrrev_i32_e32 v75, 31, v74
	v_add_nc_u32_e32 v94, s6, v74
	s_delay_alu instid0(VALU_DEP_2) | instskip(NEXT) | instid1(VALU_DEP_4)
	v_lshlrev_b64_e32 v[58:59], 3, v[74:75]
	v_add_co_u32 v74, vcc_lo, s14, v68
	s_wait_alu 0xfffd
	v_add_co_ci_u32_e64 v75, null, s15, v69, vcc_lo
	v_ashrrev_i32_e32 v95, 31, v94
	s_delay_alu instid0(VALU_DEP_4) | instskip(SKIP_2) | instid1(VALU_DEP_3)
	v_add_co_u32 v58, vcc_lo, s14, v58
	s_wait_alu 0xfffd
	v_add_co_ci_u32_e64 v59, null, s15, v59, vcc_lo
	v_lshlrev_b64_e32 v[68:69], 3, v[94:95]
	v_add_nc_u32_e32 v72, s6, v94
	s_delay_alu instid0(VALU_DEP_2) | instskip(SKIP_1) | instid1(VALU_DEP_3)
	v_add_co_u32 v76, vcc_lo, s14, v68
	s_wait_alu 0xfffd
	v_add_co_ci_u32_e64 v77, null, s15, v69, vcc_lo
	s_delay_alu instid0(VALU_DEP_3) | instskip(SKIP_1) | instid1(VALU_DEP_2)
	v_ashrrev_i32_e32 v73, 31, v72
	v_cmp_ngt_f64_e64 s0, |v[64:65]|, s[16:17]
	v_lshlrev_b64_e32 v[72:73], 3, v[72:73]
	s_delay_alu instid0(VALU_DEP_1) | instskip(SKIP_1) | instid1(VALU_DEP_2)
	v_add_co_u32 v94, vcc_lo, s14, v72
	s_wait_alu 0xfffd
	v_add_co_ci_u32_e64 v95, null, s15, v73, vcc_lo
	s_wait_loadcnt 0x0
	scratch_store_b64 off, v[18:19], off offset:40 ; 8-byte Folded Spill
	global_load_b64 v[18:19], v[74:75], off
	s_wait_loadcnt 0x0
	scratch_store_b64 off, v[18:19], off offset:48 ; 8-byte Folded Spill
	s_clause 0x2
	global_load_b64 v[74:75], v[58:59], off
	global_load_b64 v[18:19], v[76:77], off
	global_load_b64 v[76:77], v[94:95], off
	s_wait_loadcnt 0x1
	scratch_store_b64 off, v[18:19], off offset:56 ; 8-byte Folded Spill
	s_clause 0x3
	global_load_b64 v[40:41], v[130:131], off
	global_load_b64 v[112:113], v[120:121], off
	;; [unrolled: 1-line block ×4, first 2 shown]
	s_and_saveexec_b32 s1, s0
	s_wait_alu 0xfffe
	s_xor_b32 s0, exec_lo, s1
	s_cbranch_execz .LBB0_3
; %bb.2:
	v_mul_f64_e32 v[70:71], s[12:13], v[66:67]
                                        ; implicit-def: $vgpr64_vgpr65
                                        ; implicit-def: $vgpr66_vgpr67
.LBB0_3:
	s_wait_alu 0xfffe
	s_and_not1_saveexec_b32 s1, s0
	s_cbranch_execz .LBB0_5
; %bb.4:
	v_mul_f64_e32 v[70:71], s[12:13], v[64:65]
	s_mov_b32 s2, 0x652b82fe
	s_mov_b32 s3, 0x3ff71547
	;; [unrolled: 1-line block ×4, first 2 shown]
	s_wait_alu 0xfffe
	s_delay_alu instid0(VALU_DEP_1) | instskip(SKIP_4) | instid1(VALU_DEP_3)
	v_mul_f64_e32 v[88:89], s[2:3], v[70:71]
	s_mov_b32 s2, 0xfefa39ef
	s_mov_b32 s3, 0xbfe62e42
	v_cmp_nlt_f64_e32 vcc_lo, 0x40900000, v[70:71]
	v_cmp_ngt_f64_e64 s0, 0xc090cc00, v[70:71]
	v_rndne_f64_e32 v[88:89], v[88:89]
	s_wait_alu 0xfffe
	s_delay_alu instid0(VALU_DEP_1) | instskip(SKIP_4) | instid1(VALU_DEP_2)
	v_fma_f64 v[94:95], v[88:89], s[2:3], v[70:71]
	s_mov_b32 s2, 0x3b39803f
	s_mov_b32 s3, 0xbc7abc9e
	v_cvt_i32_f64_e32 v18, v[88:89]
	s_wait_alu 0xfffe
	v_fma_f64 v[94:95], v[88:89], s[2:3], v[94:95]
	s_mov_b32 s2, 0xfca7ab0c
	s_mov_b32 s3, 0x3e928af3
	s_wait_alu 0xfffe
	s_delay_alu instid0(VALU_DEP_1) | instskip(SKIP_3) | instid1(VALU_DEP_1)
	v_fma_f64 v[96:97], v[94:95], s[4:5], s[2:3]
	s_mov_b32 s2, 0x623fde64
	s_mov_b32 s3, 0x3ec71dee
	s_wait_alu 0xfffe
	v_fma_f64 v[96:97], v[94:95], v[96:97], s[2:3]
	s_mov_b32 s2, 0x7c89e6b0
	s_mov_b32 s3, 0x3efa0199
	s_wait_alu 0xfffe
	s_delay_alu instid0(VALU_DEP_1) | instskip(SKIP_3) | instid1(VALU_DEP_1)
	v_fma_f64 v[96:97], v[94:95], v[96:97], s[2:3]
	s_mov_b32 s2, 0x14761f6e
	s_mov_b32 s3, 0x3f2a01a0
	;; [unrolled: 9-line block ×4, first 2 shown]
	s_wait_alu 0xfffe
	v_fma_f64 v[96:97], v[94:95], v[96:97], s[2:3]
	s_mov_b32 s2, 11
	s_mov_b32 s3, 0x3fe00000
	s_wait_alu 0xfffe
	s_delay_alu instid0(VALU_DEP_1) | instskip(NEXT) | instid1(VALU_DEP_1)
	v_fma_f64 v[96:97], v[94:95], v[96:97], s[2:3]
	v_fma_f64 v[96:97], v[94:95], v[96:97], 1.0
	s_delay_alu instid0(VALU_DEP_1) | instskip(NEXT) | instid1(VALU_DEP_1)
	v_fma_f64 v[88:89], v[94:95], v[96:97], 1.0
	v_ldexp_f64 v[88:89], v[88:89], v18
	s_delay_alu instid0(VALU_DEP_1) | instskip(SKIP_1) | instid1(VALU_DEP_1)
	v_add_f64_e32 v[88:89], -1.0, v[88:89]
	s_wait_alu 0xfffd
	v_cndmask_b32_e32 v18, 0x7ff00000, v89, vcc_lo
	s_and_b32 vcc_lo, s0, vcc_lo
	s_wait_alu 0xfffe
	s_delay_alu instid0(VALU_DEP_2) | instskip(NEXT) | instid1(VALU_DEP_2)
	v_cndmask_b32_e32 v70, 0, v88, vcc_lo
	v_cndmask_b32_e64 v71, 0xbff00000, v18, s0
	s_delay_alu instid0(VALU_DEP_1) | instskip(NEXT) | instid1(VALU_DEP_1)
	v_mul_f64_e32 v[66:67], v[66:67], v[70:71]
	v_div_scale_f64 v[70:71], null, v[64:65], v[64:65], v[66:67]
	s_delay_alu instid0(VALU_DEP_1) | instskip(NEXT) | instid1(TRANS32_DEP_1)
	v_rcp_f64_e32 v[88:89], v[70:71]
	v_fma_f64 v[94:95], -v[70:71], v[88:89], 1.0
	s_delay_alu instid0(VALU_DEP_1) | instskip(NEXT) | instid1(VALU_DEP_1)
	v_fma_f64 v[88:89], v[88:89], v[94:95], v[88:89]
	v_fma_f64 v[94:95], -v[70:71], v[88:89], 1.0
	s_delay_alu instid0(VALU_DEP_1) | instskip(SKIP_1) | instid1(VALU_DEP_1)
	v_fma_f64 v[88:89], v[88:89], v[94:95], v[88:89]
	v_div_scale_f64 v[94:95], vcc_lo, v[66:67], v[64:65], v[66:67]
	v_mul_f64_e32 v[96:97], v[94:95], v[88:89]
	s_delay_alu instid0(VALU_DEP_1) | instskip(SKIP_1) | instid1(VALU_DEP_1)
	v_fma_f64 v[70:71], -v[70:71], v[96:97], v[94:95]
	s_wait_alu 0xfffd
	v_div_fmas_f64 v[70:71], v[70:71], v[88:89], v[96:97]
	s_delay_alu instid0(VALU_DEP_1)
	v_div_fixup_f64 v[70:71], v[70:71], v[64:65], v[66:67]
.LBB0_5:
	s_wait_alu 0xfffe
	s_or_b32 exec_lo, exec_lo, s1
	s_delay_alu instid0(VALU_DEP_1)
	v_add_f64_e32 v[64:65], v[32:33], v[70:71]
	s_mov_b32 s0, 0x55555555
	s_mov_b32 s1, 0x400d5555
	;; [unrolled: 1-line block ×28, first 2 shown]
	global_store_b64 v[180:181], v[64:65], off
	v_div_scale_f64 v[64:65], null, 0x40380000, 0x40380000, v[2:3]
	s_delay_alu instid0(VALU_DEP_1) | instskip(NEXT) | instid1(TRANS32_DEP_1)
	v_rcp_f64_e32 v[66:67], v[64:65]
	v_fma_f64 v[70:71], -v[64:65], v[66:67], 1.0
	s_delay_alu instid0(VALU_DEP_1) | instskip(NEXT) | instid1(VALU_DEP_1)
	v_fma_f64 v[66:67], v[66:67], v[70:71], v[66:67]
	v_fma_f64 v[70:71], -v[64:65], v[66:67], 1.0
	s_delay_alu instid0(VALU_DEP_1) | instskip(SKIP_1) | instid1(VALU_DEP_1)
	v_fma_f64 v[66:67], v[66:67], v[70:71], v[66:67]
	v_div_scale_f64 v[70:71], vcc_lo, v[2:3], 0x40380000, v[2:3]
	v_mul_f64_e32 v[88:89], v[70:71], v[66:67]
	s_delay_alu instid0(VALU_DEP_1) | instskip(SKIP_1) | instid1(VALU_DEP_1)
	v_fma_f64 v[64:65], -v[64:65], v[88:89], v[70:71]
	s_wait_alu 0xfffd
	v_div_fmas_f64 v[64:65], v[64:65], v[66:67], v[88:89]
	s_delay_alu instid0(VALU_DEP_1) | instskip(SKIP_1) | instid1(VALU_DEP_1)
	v_div_fixup_f64 v[64:65], v[64:65], 0x40380000, v[2:3]
	s_wait_alu 0xfffe
	v_add_f64_e32 v[64:65], s[0:1], v[64:65]
	s_delay_alu instid0(VALU_DEP_1) | instskip(SKIP_1) | instid1(VALU_DEP_2)
	v_mul_f64_e32 v[66:67], s[2:3], v[64:65]
	v_cmp_ngt_f64_e64 s0, 0xc090cc00, v[64:65]
	v_rndne_f64_e32 v[66:67], v[66:67]
	s_delay_alu instid0(VALU_DEP_1) | instskip(SKIP_1) | instid1(VALU_DEP_2)
	v_fma_f64 v[70:71], v[66:67], s[4:5], v[64:65]
	v_cvt_i32_f64_e32 v18, v[66:67]
	v_fma_f64 v[70:71], v[66:67], s[6:7], v[70:71]
	s_delay_alu instid0(VALU_DEP_1) | instskip(NEXT) | instid1(VALU_DEP_1)
	v_fma_f64 v[88:89], v[70:71], s[14:15], s[8:9]
	v_fma_f64 v[88:89], v[70:71], v[88:89], s[16:17]
	s_delay_alu instid0(VALU_DEP_1) | instskip(NEXT) | instid1(VALU_DEP_1)
	v_fma_f64 v[88:89], v[70:71], v[88:89], s[18:19]
	;; [unrolled: 3-line block ×5, first 2 shown]
	v_fma_f64 v[88:89], v[70:71], v[88:89], 1.0
	s_delay_alu instid0(VALU_DEP_1) | instskip(NEXT) | instid1(VALU_DEP_1)
	v_fma_f64 v[70:71], v[70:71], v[88:89], 1.0
	v_ldexp_f64 v[66:67], v[70:71], v18
	s_delay_alu instid0(VALU_DEP_1) | instskip(NEXT) | instid1(VALU_DEP_1)
	v_add_f64_e32 v[66:67], 1.0, v[66:67]
	v_div_scale_f64 v[70:71], null, v[66:67], v[66:67], 1.0
	s_delay_alu instid0(VALU_DEP_1) | instskip(NEXT) | instid1(TRANS32_DEP_1)
	v_rcp_f64_e32 v[88:89], v[70:71]
	v_fma_f64 v[94:95], -v[70:71], v[88:89], 1.0
	s_delay_alu instid0(VALU_DEP_1) | instskip(NEXT) | instid1(VALU_DEP_1)
	v_fma_f64 v[88:89], v[88:89], v[94:95], v[88:89]
	v_fma_f64 v[94:95], -v[70:71], v[88:89], 1.0
	s_delay_alu instid0(VALU_DEP_1) | instskip(SKIP_1) | instid1(VALU_DEP_1)
	v_fma_f64 v[88:89], v[88:89], v[94:95], v[88:89]
	v_div_scale_f64 v[94:95], vcc_lo, 1.0, v[66:67], 1.0
	v_mul_f64_e32 v[96:97], v[94:95], v[88:89]
	s_delay_alu instid0(VALU_DEP_1) | instskip(SKIP_1) | instid1(VALU_DEP_1)
	v_fma_f64 v[70:71], -v[70:71], v[96:97], v[94:95]
	s_wait_alu 0xfffd
	v_div_fmas_f64 v[70:71], v[70:71], v[88:89], v[96:97]
	v_cmp_nlt_f64_e32 vcc_lo, 0x40900000, v[64:65]
	s_delay_alu instid0(VALU_DEP_2) | instskip(SKIP_1) | instid1(VALU_DEP_1)
	v_div_fixup_f64 v[66:67], v[70:71], v[66:67], 1.0
	s_wait_alu 0xfffd
	v_cndmask_b32_e32 v18, 0, v67, vcc_lo
	s_and_b32 vcc_lo, s0, vcc_lo
	s_wait_alu 0xfffe
	s_delay_alu instid0(VALU_DEP_2) | instskip(SKIP_2) | instid1(VALU_DEP_1)
	v_cndmask_b32_e32 v64, 0, v66, vcc_lo
	v_div_scale_f64 v[66:67], null, 0x40340000, 0x40340000, v[2:3]
	v_cndmask_b32_e64 v65, 0x3ff00000, v18, s0
	v_add_f64_e64 v[64:65], v[64:65], -v[12:13]
	s_delay_alu instid0(VALU_DEP_3) | instskip(NEXT) | instid1(TRANS32_DEP_1)
	v_rcp_f64_e32 v[70:71], v[66:67]
	v_fma_f64 v[88:89], -v[66:67], v[70:71], 1.0
	s_delay_alu instid0(VALU_DEP_1) | instskip(NEXT) | instid1(VALU_DEP_1)
	v_fma_f64 v[70:71], v[70:71], v[88:89], v[70:71]
	v_fma_f64 v[88:89], -v[66:67], v[70:71], 1.0
	s_delay_alu instid0(VALU_DEP_1) | instskip(SKIP_1) | instid1(VALU_DEP_1)
	v_fma_f64 v[70:71], v[70:71], v[88:89], v[70:71]
	v_div_scale_f64 v[88:89], vcc_lo, v[2:3], 0x40340000, v[2:3]
	v_mul_f64_e32 v[94:95], v[88:89], v[70:71]
	s_delay_alu instid0(VALU_DEP_1) | instskip(SKIP_1) | instid1(VALU_DEP_1)
	v_fma_f64 v[66:67], -v[66:67], v[94:95], v[88:89]
	s_wait_alu 0xfffd
	v_div_fmas_f64 v[66:67], v[66:67], v[70:71], v[94:95]
	s_delay_alu instid0(VALU_DEP_1) | instskip(NEXT) | instid1(VALU_DEP_1)
	v_div_fixup_f64 v[180:181], v[66:67], 0x40340000, v[2:3]
	v_add_f64_e64 v[66:67], 0xc0080000, -v[180:181]
	s_delay_alu instid0(VALU_DEP_1) | instskip(SKIP_1) | instid1(VALU_DEP_2)
	v_mul_f64_e32 v[70:71], s[2:3], v[66:67]
	v_cmp_ngt_f64_e64 s0, 0xc090cc00, v[66:67]
	v_rndne_f64_e32 v[70:71], v[70:71]
	s_delay_alu instid0(VALU_DEP_1) | instskip(SKIP_1) | instid1(VALU_DEP_2)
	v_fma_f64 v[88:89], v[70:71], s[4:5], v[66:67]
	v_cvt_i32_f64_e32 v18, v[70:71]
	v_fma_f64 v[88:89], v[70:71], s[6:7], v[88:89]
	s_delay_alu instid0(VALU_DEP_1) | instskip(NEXT) | instid1(VALU_DEP_1)
	v_fma_f64 v[94:95], v[88:89], s[14:15], s[8:9]
	v_fma_f64 v[94:95], v[88:89], v[94:95], s[16:17]
	s_delay_alu instid0(VALU_DEP_1) | instskip(NEXT) | instid1(VALU_DEP_1)
	v_fma_f64 v[94:95], v[88:89], v[94:95], s[18:19]
	;; [unrolled: 3-line block ×5, first 2 shown]
	v_fma_f64 v[94:95], v[88:89], v[94:95], 1.0
	s_delay_alu instid0(VALU_DEP_1) | instskip(NEXT) | instid1(VALU_DEP_1)
	v_fma_f64 v[88:89], v[88:89], v[94:95], 1.0
	v_ldexp_f64 v[70:71], v[88:89], v18
	s_delay_alu instid0(VALU_DEP_1) | instskip(NEXT) | instid1(VALU_DEP_1)
	v_add_f64_e32 v[70:71], 1.0, v[70:71]
	v_div_scale_f64 v[88:89], null, v[70:71], v[70:71], 0x40080000
	s_delay_alu instid0(VALU_DEP_1) | instskip(NEXT) | instid1(TRANS32_DEP_1)
	v_rcp_f64_e32 v[94:95], v[88:89]
	v_fma_f64 v[96:97], -v[88:89], v[94:95], 1.0
	s_delay_alu instid0(VALU_DEP_1) | instskip(NEXT) | instid1(VALU_DEP_1)
	v_fma_f64 v[94:95], v[94:95], v[96:97], v[94:95]
	v_fma_f64 v[96:97], -v[88:89], v[94:95], 1.0
	s_delay_alu instid0(VALU_DEP_1) | instskip(SKIP_1) | instid1(VALU_DEP_1)
	v_fma_f64 v[94:95], v[94:95], v[96:97], v[94:95]
	v_div_scale_f64 v[96:97], vcc_lo, 0x40080000, v[70:71], 0x40080000
	v_mul_f64_e32 v[186:187], v[96:97], v[94:95]
	s_delay_alu instid0(VALU_DEP_1) | instskip(SKIP_1) | instid1(VALU_DEP_1)
	v_fma_f64 v[88:89], -v[88:89], v[186:187], v[96:97]
	s_wait_alu 0xfffd
	v_div_fmas_f64 v[88:89], v[88:89], v[94:95], v[186:187]
	v_cmp_nlt_f64_e32 vcc_lo, 0x40900000, v[66:67]
	s_delay_alu instid0(VALU_DEP_2) | instskip(SKIP_1) | instid1(VALU_DEP_1)
	v_div_fixup_f64 v[70:71], v[88:89], v[70:71], 0x40080000
	s_wait_alu 0xfffd
	v_cndmask_b32_e32 v18, 0, v71, vcc_lo
	s_and_b32 vcc_lo, s0, vcc_lo
	s_wait_alu 0xfffe
	s_delay_alu instid0(VALU_DEP_2) | instskip(SKIP_4) | instid1(VALU_DEP_2)
	v_cndmask_b32_e32 v66, 0, v70, vcc_lo
	v_add_f64_e32 v[70:71], 0xc0080000, v[180:181]
	v_cndmask_b32_e64 v67, 0x40080000, v18, s0
	s_mov_b32 s0, 0x1eb851ec
	s_mov_b32 s1, 0x3ff1eb85
	v_mul_f64_e32 v[88:89], s[2:3], v[70:71]
	s_delay_alu instid0(VALU_DEP_1) | instskip(NEXT) | instid1(VALU_DEP_1)
	v_rndne_f64_e32 v[88:89], v[88:89]
	v_fma_f64 v[94:95], v[88:89], s[4:5], v[70:71]
	v_cvt_i32_f64_e32 v18, v[88:89]
	s_delay_alu instid0(VALU_DEP_2) | instskip(NEXT) | instid1(VALU_DEP_1)
	v_fma_f64 v[94:95], v[88:89], s[6:7], v[94:95]
	v_fma_f64 v[96:97], v[94:95], s[14:15], s[8:9]
	s_delay_alu instid0(VALU_DEP_1) | instskip(NEXT) | instid1(VALU_DEP_1)
	v_fma_f64 v[96:97], v[94:95], v[96:97], s[16:17]
	v_fma_f64 v[96:97], v[94:95], v[96:97], s[18:19]
	s_delay_alu instid0(VALU_DEP_1) | instskip(NEXT) | instid1(VALU_DEP_1)
	;; [unrolled: 3-line block ×5, first 2 shown]
	v_fma_f64 v[96:97], v[94:95], v[96:97], 1.0
	v_fma_f64 v[94:95], v[94:95], v[96:97], 1.0
	s_delay_alu instid0(VALU_DEP_1) | instskip(NEXT) | instid1(VALU_DEP_1)
	v_ldexp_f64 v[88:89], v[94:95], v18
	v_add_f64_e32 v[88:89], 1.0, v[88:89]
	s_wait_alu 0xfffe
	s_delay_alu instid0(VALU_DEP_1) | instskip(NEXT) | instid1(VALU_DEP_1)
	v_div_scale_f64 v[94:95], null, v[88:89], v[88:89], s[0:1]
	v_rcp_f64_e32 v[96:97], v[94:95]
	s_delay_alu instid0(TRANS32_DEP_1) | instskip(NEXT) | instid1(VALU_DEP_1)
	v_fma_f64 v[186:187], -v[94:95], v[96:97], 1.0
	v_fma_f64 v[96:97], v[96:97], v[186:187], v[96:97]
	s_delay_alu instid0(VALU_DEP_1) | instskip(NEXT) | instid1(VALU_DEP_1)
	v_fma_f64 v[186:187], -v[94:95], v[96:97], 1.0
	v_fma_f64 v[96:97], v[96:97], v[186:187], v[96:97]
	v_div_scale_f64 v[186:187], vcc_lo, s[0:1], v[88:89], s[0:1]
	s_delay_alu instid0(VALU_DEP_1) | instskip(NEXT) | instid1(VALU_DEP_1)
	v_mul_f64_e32 v[188:189], v[186:187], v[96:97]
	v_fma_f64 v[94:95], -v[94:95], v[188:189], v[186:187]
	s_wait_alu 0xfffd
	s_delay_alu instid0(VALU_DEP_1) | instskip(SKIP_1) | instid1(VALU_DEP_2)
	v_div_fmas_f64 v[94:95], v[94:95], v[96:97], v[188:189]
	v_cmp_nlt_f64_e32 vcc_lo, 0x40900000, v[70:71]
	v_div_fixup_f64 v[88:89], v[94:95], v[88:89], s[0:1]
	s_mov_b32 s0, 0xe2308c3a
	s_mov_b32 s1, 0x3e45798e
	s_wait_alu 0xfffd
	s_delay_alu instid0(VALU_DEP_1) | instskip(SKIP_2) | instid1(VALU_DEP_2)
	v_dual_cndmask_b32 v18, 0, v88 :: v_dual_cndmask_b32 v19, 0, v89
	v_cmp_ngt_f64_e32 vcc_lo, 0xc090cc00, v[70:71]
	s_wait_alu 0xfffd
	v_cndmask_b32_e32 v71, 0x3ff1eb85, v19, vcc_lo
	s_delay_alu instid0(VALU_DEP_3) | instskip(NEXT) | instid1(VALU_DEP_1)
	v_cndmask_b32_e32 v70, 0x1eb851ec, v18, vcc_lo
	v_mul_f64_e32 v[66:67], v[66:67], v[70:71]
	s_delay_alu instid0(VALU_DEP_1) | instskip(NEXT) | instid1(VALU_DEP_1)
	v_div_scale_f64 v[70:71], null, v[66:67], v[66:67], v[64:65]
	v_rcp_f64_e32 v[88:89], v[70:71]
	s_delay_alu instid0(TRANS32_DEP_1) | instskip(NEXT) | instid1(VALU_DEP_1)
	v_fma_f64 v[94:95], -v[70:71], v[88:89], 1.0
	v_fma_f64 v[88:89], v[88:89], v[94:95], v[88:89]
	s_delay_alu instid0(VALU_DEP_1) | instskip(NEXT) | instid1(VALU_DEP_1)
	v_fma_f64 v[94:95], -v[70:71], v[88:89], 1.0
	v_fma_f64 v[88:89], v[88:89], v[94:95], v[88:89]
	v_div_scale_f64 v[94:95], vcc_lo, v[64:65], v[66:67], v[64:65]
	s_delay_alu instid0(VALU_DEP_1) | instskip(NEXT) | instid1(VALU_DEP_1)
	v_mul_f64_e32 v[96:97], v[94:95], v[88:89]
	v_fma_f64 v[70:71], -v[70:71], v[96:97], v[94:95]
	s_wait_alu 0xfffd
	s_delay_alu instid0(VALU_DEP_1) | instskip(NEXT) | instid1(VALU_DEP_1)
	v_div_fmas_f64 v[70:71], v[70:71], v[88:89], v[96:97]
	v_div_fixup_f64 v[64:65], v[70:71], v[66:67], v[64:65]
	v_div_scale_f64 v[70:71], null, v[66:67], v[66:67], -1.0
	s_delay_alu instid0(VALU_DEP_1) | instskip(NEXT) | instid1(TRANS32_DEP_1)
	v_rcp_f64_e32 v[88:89], v[70:71]
	v_fma_f64 v[94:95], -v[70:71], v[88:89], 1.0
	s_delay_alu instid0(VALU_DEP_1) | instskip(NEXT) | instid1(VALU_DEP_1)
	v_fma_f64 v[88:89], v[88:89], v[94:95], v[88:89]
	v_fma_f64 v[94:95], -v[70:71], v[88:89], 1.0
	s_delay_alu instid0(VALU_DEP_1) | instskip(SKIP_1) | instid1(VALU_DEP_1)
	v_fma_f64 v[88:89], v[88:89], v[94:95], v[88:89]
	v_div_scale_f64 v[94:95], vcc_lo, -1.0, v[66:67], -1.0
	v_mul_f64_e32 v[96:97], v[94:95], v[88:89]
	s_delay_alu instid0(VALU_DEP_1) | instskip(SKIP_1) | instid1(VALU_DEP_1)
	v_fma_f64 v[70:71], -v[70:71], v[96:97], v[94:95]
	s_wait_alu 0xfffd
	v_div_fmas_f64 v[70:71], v[70:71], v[88:89], v[96:97]
	s_delay_alu instid0(VALU_DEP_1) | instskip(SKIP_1) | instid1(VALU_DEP_1)
	v_div_fixup_f64 v[66:67], v[70:71], v[66:67], -1.0
                                        ; implicit-def: $vgpr70_vgpr71
	s_wait_alu 0xfffe
	v_cmp_ngt_f64_e64 s0, |v[66:67]|, s[0:1]
	s_and_saveexec_b32 s1, s0
	s_wait_alu 0xfffe
	s_xor_b32 s0, exec_lo, s1
	s_cbranch_execz .LBB0_7
; %bb.6:
	v_mul_f64_e32 v[70:71], s[12:13], v[64:65]
                                        ; implicit-def: $vgpr66_vgpr67
                                        ; implicit-def: $vgpr64_vgpr65
.LBB0_7:
	s_wait_alu 0xfffe
	s_and_not1_saveexec_b32 s1, s0
	s_cbranch_execz .LBB0_9
; %bb.8:
	v_mul_f64_e32 v[70:71], s[12:13], v[66:67]
	s_mov_b32 s4, 0x6a5dcb37
	s_mov_b32 s5, 0x3e5ade15
	s_delay_alu instid0(VALU_DEP_1) | instskip(SKIP_4) | instid1(VALU_DEP_3)
	v_mul_f64_e32 v[88:89], s[2:3], v[70:71]
	s_mov_b32 s2, 0xfefa39ef
	s_mov_b32 s3, 0xbfe62e42
	v_cmp_nlt_f64_e32 vcc_lo, 0x40900000, v[70:71]
	v_cmp_ngt_f64_e64 s0, 0xc090cc00, v[70:71]
	v_rndne_f64_e32 v[88:89], v[88:89]
	s_wait_alu 0xfffe
	s_delay_alu instid0(VALU_DEP_1) | instskip(SKIP_4) | instid1(VALU_DEP_2)
	v_fma_f64 v[94:95], v[88:89], s[2:3], v[70:71]
	s_mov_b32 s2, 0x3b39803f
	s_mov_b32 s3, 0xbc7abc9e
	v_cvt_i32_f64_e32 v18, v[88:89]
	s_wait_alu 0xfffe
	v_fma_f64 v[94:95], v[88:89], s[2:3], v[94:95]
	s_mov_b32 s2, 0xfca7ab0c
	s_mov_b32 s3, 0x3e928af3
	s_wait_alu 0xfffe
	s_delay_alu instid0(VALU_DEP_1) | instskip(SKIP_3) | instid1(VALU_DEP_1)
	v_fma_f64 v[96:97], v[94:95], s[4:5], s[2:3]
	s_mov_b32 s2, 0x623fde64
	s_mov_b32 s3, 0x3ec71dee
	s_wait_alu 0xfffe
	v_fma_f64 v[96:97], v[94:95], v[96:97], s[2:3]
	s_mov_b32 s2, 0x7c89e6b0
	s_mov_b32 s3, 0x3efa0199
	s_wait_alu 0xfffe
	s_delay_alu instid0(VALU_DEP_1) | instskip(SKIP_3) | instid1(VALU_DEP_1)
	v_fma_f64 v[96:97], v[94:95], v[96:97], s[2:3]
	s_mov_b32 s2, 0x14761f6e
	s_mov_b32 s3, 0x3f2a01a0
	;; [unrolled: 9-line block ×4, first 2 shown]
	s_wait_alu 0xfffe
	v_fma_f64 v[96:97], v[94:95], v[96:97], s[2:3]
	s_mov_b32 s2, 11
	s_mov_b32 s3, 0x3fe00000
	s_wait_alu 0xfffe
	s_delay_alu instid0(VALU_DEP_1) | instskip(NEXT) | instid1(VALU_DEP_1)
	v_fma_f64 v[96:97], v[94:95], v[96:97], s[2:3]
	v_fma_f64 v[96:97], v[94:95], v[96:97], 1.0
	s_delay_alu instid0(VALU_DEP_1) | instskip(NEXT) | instid1(VALU_DEP_1)
	v_fma_f64 v[88:89], v[94:95], v[96:97], 1.0
	v_ldexp_f64 v[88:89], v[88:89], v18
	s_delay_alu instid0(VALU_DEP_1) | instskip(SKIP_1) | instid1(VALU_DEP_1)
	v_add_f64_e32 v[88:89], -1.0, v[88:89]
	s_wait_alu 0xfffd
	v_cndmask_b32_e32 v18, 0x7ff00000, v89, vcc_lo
	s_and_b32 vcc_lo, s0, vcc_lo
	s_wait_alu 0xfffe
	s_delay_alu instid0(VALU_DEP_2) | instskip(NEXT) | instid1(VALU_DEP_2)
	v_cndmask_b32_e32 v70, 0, v88, vcc_lo
	v_cndmask_b32_e64 v71, 0xbff00000, v18, s0
	s_delay_alu instid0(VALU_DEP_1) | instskip(NEXT) | instid1(VALU_DEP_1)
	v_mul_f64_e32 v[64:65], v[64:65], v[70:71]
	v_div_scale_f64 v[70:71], null, v[66:67], v[66:67], v[64:65]
	s_delay_alu instid0(VALU_DEP_1) | instskip(NEXT) | instid1(TRANS32_DEP_1)
	v_rcp_f64_e32 v[88:89], v[70:71]
	v_fma_f64 v[94:95], -v[70:71], v[88:89], 1.0
	s_delay_alu instid0(VALU_DEP_1) | instskip(NEXT) | instid1(VALU_DEP_1)
	v_fma_f64 v[88:89], v[88:89], v[94:95], v[88:89]
	v_fma_f64 v[94:95], -v[70:71], v[88:89], 1.0
	s_delay_alu instid0(VALU_DEP_1) | instskip(SKIP_1) | instid1(VALU_DEP_1)
	v_fma_f64 v[88:89], v[88:89], v[94:95], v[88:89]
	v_div_scale_f64 v[94:95], vcc_lo, v[64:65], v[66:67], v[64:65]
	v_mul_f64_e32 v[96:97], v[94:95], v[88:89]
	s_delay_alu instid0(VALU_DEP_1) | instskip(SKIP_1) | instid1(VALU_DEP_1)
	v_fma_f64 v[70:71], -v[70:71], v[96:97], v[94:95]
	s_wait_alu 0xfffd
	v_div_fmas_f64 v[70:71], v[70:71], v[88:89], v[96:97]
	s_delay_alu instid0(VALU_DEP_1)
	v_div_fixup_f64 v[70:71], v[70:71], v[66:67], v[64:65]
.LBB0_9:
	s_wait_alu 0xfffe
	s_or_b32 exec_lo, exec_lo, s1
	s_delay_alu instid0(VALU_DEP_1)
	v_add_f64_e32 v[64:65], v[12:13], v[70:71]
	s_mov_b32 s0, 0xb6db6db7
	s_mov_b32 s1, 0xbfd6db6d
	s_mov_b32 s2, 0x652b82fe
	s_mov_b32 s3, 0x3ff71547
	s_mov_b32 s4, 0xfefa39ef
	s_mov_b32 s5, 0xbfe62e42
	global_store_b64 v[166:167], v[64:65], off
	v_div_scale_f64 v[64:65], null, 0xc02c0000, 0xc02c0000, v[2:3]
	s_delay_alu instid0(VALU_DEP_1) | instskip(NEXT) | instid1(TRANS32_DEP_1)
	v_rcp_f64_e32 v[66:67], v[64:65]
	v_fma_f64 v[70:71], -v[64:65], v[66:67], 1.0
	s_delay_alu instid0(VALU_DEP_1) | instskip(NEXT) | instid1(VALU_DEP_1)
	v_fma_f64 v[66:67], v[66:67], v[70:71], v[66:67]
	v_fma_f64 v[70:71], -v[64:65], v[66:67], 1.0
	s_delay_alu instid0(VALU_DEP_1) | instskip(SKIP_1) | instid1(VALU_DEP_1)
	v_fma_f64 v[66:67], v[66:67], v[70:71], v[66:67]
	v_div_scale_f64 v[70:71], vcc_lo, v[2:3], 0xc02c0000, v[2:3]
	v_mul_f64_e32 v[88:89], v[70:71], v[66:67]
	s_delay_alu instid0(VALU_DEP_1) | instskip(SKIP_1) | instid1(VALU_DEP_1)
	v_fma_f64 v[64:65], -v[64:65], v[88:89], v[70:71]
	s_wait_alu 0xfffd
	v_div_fmas_f64 v[64:65], v[64:65], v[66:67], v[88:89]
	s_delay_alu instid0(VALU_DEP_1) | instskip(SKIP_1) | instid1(VALU_DEP_1)
	v_div_fixup_f64 v[64:65], v[64:65], 0xc02c0000, v[2:3]
	s_wait_alu 0xfffe
	v_add_f64_e32 v[64:65], s[0:1], v[64:65]
	s_mov_b32 s1, 0x3feaaaaa
	s_delay_alu instid0(VALU_DEP_1) | instskip(SKIP_1) | instid1(VALU_DEP_2)
	v_mul_f64_e32 v[66:67], s[2:3], v[64:65]
	v_cmp_ngt_f64_e64 s0, 0xc090cc00, v[64:65]
	v_rndne_f64_e32 v[66:67], v[66:67]
	s_delay_alu instid0(VALU_DEP_1) | instskip(SKIP_1) | instid1(VALU_DEP_2)
	v_fma_f64 v[70:71], v[66:67], s[4:5], v[64:65]
	v_cvt_i32_f64_e32 v18, v[66:67]
	v_fma_f64 v[70:71], v[66:67], s[6:7], v[70:71]
	s_delay_alu instid0(VALU_DEP_1) | instskip(NEXT) | instid1(VALU_DEP_1)
	v_fma_f64 v[88:89], v[70:71], s[14:15], s[8:9]
	v_fma_f64 v[88:89], v[70:71], v[88:89], s[16:17]
	s_delay_alu instid0(VALU_DEP_1) | instskip(NEXT) | instid1(VALU_DEP_1)
	v_fma_f64 v[88:89], v[70:71], v[88:89], s[18:19]
	;; [unrolled: 3-line block ×5, first 2 shown]
	v_fma_f64 v[88:89], v[70:71], v[88:89], 1.0
	s_delay_alu instid0(VALU_DEP_1) | instskip(NEXT) | instid1(VALU_DEP_1)
	v_fma_f64 v[70:71], v[70:71], v[88:89], 1.0
	v_ldexp_f64 v[66:67], v[70:71], v18
	s_delay_alu instid0(VALU_DEP_1) | instskip(NEXT) | instid1(VALU_DEP_1)
	v_add_f64_e32 v[66:67], 1.0, v[66:67]
	v_div_scale_f64 v[70:71], null, v[66:67], v[66:67], 1.0
	s_delay_alu instid0(VALU_DEP_1) | instskip(NEXT) | instid1(TRANS32_DEP_1)
	v_rcp_f64_e32 v[88:89], v[70:71]
	v_fma_f64 v[94:95], -v[70:71], v[88:89], 1.0
	s_delay_alu instid0(VALU_DEP_1) | instskip(NEXT) | instid1(VALU_DEP_1)
	v_fma_f64 v[88:89], v[88:89], v[94:95], v[88:89]
	v_fma_f64 v[94:95], -v[70:71], v[88:89], 1.0
	s_delay_alu instid0(VALU_DEP_1) | instskip(SKIP_1) | instid1(VALU_DEP_1)
	v_fma_f64 v[88:89], v[88:89], v[94:95], v[88:89]
	v_div_scale_f64 v[94:95], vcc_lo, 1.0, v[66:67], 1.0
	v_mul_f64_e32 v[96:97], v[94:95], v[88:89]
	s_delay_alu instid0(VALU_DEP_1) | instskip(SKIP_1) | instid1(VALU_DEP_1)
	v_fma_f64 v[70:71], -v[70:71], v[96:97], v[94:95]
	s_wait_alu 0xfffd
	v_div_fmas_f64 v[70:71], v[70:71], v[88:89], v[96:97]
	v_cmp_nlt_f64_e32 vcc_lo, 0x40900000, v[64:65]
	s_delay_alu instid0(VALU_DEP_2) | instskip(SKIP_1) | instid1(VALU_DEP_1)
	v_div_fixup_f64 v[66:67], v[70:71], v[66:67], 1.0
	s_wait_alu 0xfffd
	v_cndmask_b32_e32 v18, 0, v67, vcc_lo
	s_and_b32 vcc_lo, s0, vcc_lo
	s_wait_alu 0xfffe
	s_delay_alu instid0(VALU_DEP_2) | instskip(SKIP_3) | instid1(VALU_DEP_2)
	v_cndmask_b32_e32 v64, 0, v66, vcc_lo
	v_div_scale_f64 v[66:67], null, 0x40180000, 0x40180000, v[2:3]
	v_cndmask_b32_e64 v65, 0x3ff00000, v18, s0
	s_mov_b32 s0, 0xaaaaaaab
	v_rcp_f64_e32 v[70:71], v[66:67]
	s_delay_alu instid0(TRANS32_DEP_1) | instskip(NEXT) | instid1(VALU_DEP_1)
	v_fma_f64 v[88:89], -v[66:67], v[70:71], 1.0
	v_fma_f64 v[70:71], v[70:71], v[88:89], v[70:71]
	s_delay_alu instid0(VALU_DEP_1) | instskip(NEXT) | instid1(VALU_DEP_1)
	v_fma_f64 v[88:89], -v[66:67], v[70:71], 1.0
	v_fma_f64 v[70:71], v[70:71], v[88:89], v[70:71]
	v_div_scale_f64 v[88:89], vcc_lo, v[2:3], 0x40180000, v[2:3]
	s_delay_alu instid0(VALU_DEP_1) | instskip(NEXT) | instid1(VALU_DEP_1)
	v_mul_f64_e32 v[94:95], v[88:89], v[70:71]
	v_fma_f64 v[66:67], -v[66:67], v[94:95], v[88:89]
	s_wait_alu 0xfffd
	s_delay_alu instid0(VALU_DEP_1) | instskip(NEXT) | instid1(VALU_DEP_1)
	v_div_fmas_f64 v[66:67], v[66:67], v[70:71], v[94:95]
	v_div_fixup_f64 v[166:167], v[66:67], 0x40180000, v[2:3]
	s_wait_alu 0xfffe
	s_delay_alu instid0(VALU_DEP_1) | instskip(SKIP_1) | instid1(VALU_DEP_1)
	v_add_f64_e64 v[66:67], -v[166:167], s[0:1]
	s_mov_b32 s1, 0xc002aaaa
	v_mul_f64_e32 v[70:71], s[2:3], v[66:67]
	v_cmp_nlt_f64_e32 vcc_lo, 0x40900000, v[66:67]
	s_delay_alu instid0(VALU_DEP_2) | instskip(NEXT) | instid1(VALU_DEP_1)
	v_rndne_f64_e32 v[70:71], v[70:71]
	v_fma_f64 v[88:89], v[70:71], s[4:5], v[66:67]
	v_cvt_i32_f64_e32 v18, v[70:71]
	s_delay_alu instid0(VALU_DEP_2) | instskip(NEXT) | instid1(VALU_DEP_1)
	v_fma_f64 v[88:89], v[70:71], s[6:7], v[88:89]
	v_fma_f64 v[94:95], v[88:89], s[14:15], s[8:9]
	s_delay_alu instid0(VALU_DEP_1) | instskip(NEXT) | instid1(VALU_DEP_1)
	v_fma_f64 v[94:95], v[88:89], v[94:95], s[16:17]
	v_fma_f64 v[94:95], v[88:89], v[94:95], s[18:19]
	s_delay_alu instid0(VALU_DEP_1) | instskip(NEXT) | instid1(VALU_DEP_1)
	;; [unrolled: 3-line block ×5, first 2 shown]
	v_fma_f64 v[94:95], v[88:89], v[94:95], 1.0
	v_fma_f64 v[88:89], v[88:89], v[94:95], 1.0
	s_delay_alu instid0(VALU_DEP_1) | instskip(NEXT) | instid1(VALU_DEP_1)
	v_ldexp_f64 v[70:71], v[88:89], v18
	v_add_f64_e32 v[70:71], 1.0, v[70:71]
	s_wait_alu 0xfffd
	s_delay_alu instid0(VALU_DEP_1) | instskip(NEXT) | instid1(VALU_DEP_2)
	v_cndmask_b32_e32 v71, 0x7ff00000, v71, vcc_lo
	v_cndmask_b32_e32 v70, 0, v70, vcc_lo
	s_delay_alu instid0(VALU_DEP_1) | instskip(SKIP_2) | instid1(VALU_DEP_1)
	v_cmp_gt_f64_e32 vcc_lo, 0x10000000, v[70:71]
	s_wait_alu 0xfffd
	v_cndmask_b32_e64 v18, 0, 0x100, vcc_lo
	v_ldexp_f64 v[70:71], v[70:71], v18
	v_cndmask_b32_e64 v18, 0, 0xffffff80, vcc_lo
	s_delay_alu instid0(VALU_DEP_2) | instskip(SKIP_1) | instid1(TRANS32_DEP_1)
	v_rsq_f64_e32 v[88:89], v[70:71]
	v_cmp_class_f64_e64 vcc_lo, v[70:71], 0x260
	v_mul_f64_e32 v[94:95], v[70:71], v[88:89]
	v_mul_f64_e32 v[88:89], 0.5, v[88:89]
	s_delay_alu instid0(VALU_DEP_1) | instskip(NEXT) | instid1(VALU_DEP_1)
	v_fma_f64 v[96:97], -v[88:89], v[94:95], 0.5
	v_fma_f64 v[94:95], v[94:95], v[96:97], v[94:95]
	v_fma_f64 v[88:89], v[88:89], v[96:97], v[88:89]
	s_delay_alu instid0(VALU_DEP_2) | instskip(NEXT) | instid1(VALU_DEP_1)
	v_fma_f64 v[186:187], -v[94:95], v[94:95], v[70:71]
	v_fma_f64 v[94:95], v[186:187], v[88:89], v[94:95]
	s_delay_alu instid0(VALU_DEP_1) | instskip(NEXT) | instid1(VALU_DEP_1)
	v_fma_f64 v[96:97], -v[94:95], v[94:95], v[70:71]
	v_fma_f64 v[88:89], v[96:97], v[88:89], v[94:95]
	s_delay_alu instid0(VALU_DEP_1) | instskip(SKIP_1) | instid1(VALU_DEP_1)
	v_ldexp_f64 v[88:89], v[88:89], v18
	s_wait_alu 0xfffd
	v_dual_cndmask_b32 v71, v89, v71 :: v_dual_cndmask_b32 v70, v88, v70
	v_add_f64_e64 v[64:65], v[64:65], -v[78:79]
	s_delay_alu instid0(VALU_DEP_2) | instskip(NEXT) | instid1(VALU_DEP_1)
	v_div_scale_f64 v[88:89], null, v[70:71], v[70:71], 0x4095e000
	v_rcp_f64_e32 v[94:95], v[88:89]
	s_delay_alu instid0(TRANS32_DEP_1) | instskip(NEXT) | instid1(VALU_DEP_1)
	v_fma_f64 v[96:97], -v[88:89], v[94:95], 1.0
	v_fma_f64 v[94:95], v[94:95], v[96:97], v[94:95]
	s_delay_alu instid0(VALU_DEP_1) | instskip(NEXT) | instid1(VALU_DEP_1)
	v_fma_f64 v[96:97], -v[88:89], v[94:95], 1.0
	v_fma_f64 v[94:95], v[94:95], v[96:97], v[94:95]
	v_div_scale_f64 v[96:97], vcc_lo, 0x4095e000, v[70:71], 0x4095e000
	s_delay_alu instid0(VALU_DEP_1) | instskip(NEXT) | instid1(VALU_DEP_1)
	v_mul_f64_e32 v[186:187], v[96:97], v[94:95]
	v_fma_f64 v[88:89], -v[88:89], v[186:187], v[96:97]
	s_wait_alu 0xfffd
	s_delay_alu instid0(VALU_DEP_1) | instskip(SKIP_1) | instid1(VALU_DEP_2)
	v_div_fmas_f64 v[88:89], v[88:89], v[94:95], v[186:187]
	v_cmp_ngt_f64_e32 vcc_lo, 0xc090cc00, v[66:67]
	v_div_fixup_f64 v[70:71], v[88:89], v[70:71], 0x4095e000
	s_wait_alu 0xfffd
	s_delay_alu instid0(VALU_DEP_1) | instskip(NEXT) | instid1(VALU_DEP_2)
	v_cndmask_b32_e32 v67, 0x4095e000, v71, vcc_lo
	v_cndmask_b32_e32 v66, 0, v70, vcc_lo
	v_div_scale_f64 v[70:71], null, 0x402e0000, 0x402e0000, v[2:3]
	s_delay_alu instid0(VALU_DEP_1) | instskip(NEXT) | instid1(TRANS32_DEP_1)
	v_rcp_f64_e32 v[88:89], v[70:71]
	v_fma_f64 v[94:95], -v[70:71], v[88:89], 1.0
	s_delay_alu instid0(VALU_DEP_1) | instskip(NEXT) | instid1(VALU_DEP_1)
	v_fma_f64 v[88:89], v[88:89], v[94:95], v[88:89]
	v_fma_f64 v[94:95], -v[70:71], v[88:89], 1.0
	s_delay_alu instid0(VALU_DEP_1) | instskip(SKIP_1) | instid1(VALU_DEP_1)
	v_fma_f64 v[88:89], v[88:89], v[94:95], v[88:89]
	v_div_scale_f64 v[94:95], vcc_lo, v[2:3], 0x402e0000, v[2:3]
	v_mul_f64_e32 v[96:97], v[94:95], v[88:89]
	s_delay_alu instid0(VALU_DEP_1) | instskip(SKIP_1) | instid1(VALU_DEP_1)
	v_fma_f64 v[70:71], -v[70:71], v[96:97], v[94:95]
	s_wait_alu 0xfffd
	v_div_fmas_f64 v[70:71], v[70:71], v[88:89], v[96:97]
	s_delay_alu instid0(VALU_DEP_1) | instskip(SKIP_1) | instid1(VALU_DEP_1)
	v_div_fixup_f64 v[70:71], v[70:71], 0x402e0000, v[2:3]
	s_wait_alu 0xfffe
	v_add_f64_e32 v[70:71], s[0:1], v[70:71]
	s_delay_alu instid0(VALU_DEP_1) | instskip(SKIP_1) | instid1(VALU_DEP_2)
	v_mul_f64_e32 v[88:89], s[2:3], v[70:71]
	v_cmp_ngt_f64_e64 s0, 0xc090cc00, v[70:71]
	v_rndne_f64_e32 v[88:89], v[88:89]
	s_delay_alu instid0(VALU_DEP_1) | instskip(SKIP_1) | instid1(VALU_DEP_2)
	v_fma_f64 v[94:95], v[88:89], s[4:5], v[70:71]
	v_cvt_i32_f64_e32 v18, v[88:89]
	v_fma_f64 v[94:95], v[88:89], s[6:7], v[94:95]
	s_delay_alu instid0(VALU_DEP_1) | instskip(NEXT) | instid1(VALU_DEP_1)
	v_fma_f64 v[96:97], v[94:95], s[14:15], s[8:9]
	v_fma_f64 v[96:97], v[94:95], v[96:97], s[16:17]
	s_delay_alu instid0(VALU_DEP_1) | instskip(NEXT) | instid1(VALU_DEP_1)
	v_fma_f64 v[96:97], v[94:95], v[96:97], s[18:19]
	;; [unrolled: 3-line block ×5, first 2 shown]
	v_fma_f64 v[96:97], v[94:95], v[96:97], 1.0
	s_delay_alu instid0(VALU_DEP_1) | instskip(NEXT) | instid1(VALU_DEP_1)
	v_fma_f64 v[94:95], v[94:95], v[96:97], 1.0
	v_ldexp_f64 v[88:89], v[94:95], v18
	s_delay_alu instid0(VALU_DEP_1) | instskip(NEXT) | instid1(VALU_DEP_1)
	v_add_f64_e32 v[88:89], 1.0, v[88:89]
	v_div_scale_f64 v[94:95], null, v[88:89], v[88:89], 1.0
	s_delay_alu instid0(VALU_DEP_1) | instskip(NEXT) | instid1(TRANS32_DEP_1)
	v_rcp_f64_e32 v[96:97], v[94:95]
	v_fma_f64 v[186:187], -v[94:95], v[96:97], 1.0
	s_delay_alu instid0(VALU_DEP_1) | instskip(NEXT) | instid1(VALU_DEP_1)
	v_fma_f64 v[96:97], v[96:97], v[186:187], v[96:97]
	v_fma_f64 v[186:187], -v[94:95], v[96:97], 1.0
	s_delay_alu instid0(VALU_DEP_1) | instskip(SKIP_1) | instid1(VALU_DEP_1)
	v_fma_f64 v[96:97], v[96:97], v[186:187], v[96:97]
	v_div_scale_f64 v[186:187], vcc_lo, 1.0, v[88:89], 1.0
	v_mul_f64_e32 v[188:189], v[186:187], v[96:97]
	s_delay_alu instid0(VALU_DEP_1) | instskip(SKIP_1) | instid1(VALU_DEP_1)
	v_fma_f64 v[94:95], -v[94:95], v[188:189], v[186:187]
	s_wait_alu 0xfffd
	v_div_fmas_f64 v[94:95], v[94:95], v[96:97], v[188:189]
	v_cmp_nlt_f64_e32 vcc_lo, 0x40900000, v[70:71]
	s_delay_alu instid0(VALU_DEP_2) | instskip(SKIP_1) | instid1(VALU_DEP_1)
	v_div_fixup_f64 v[88:89], v[94:95], v[88:89], 1.0
	s_wait_alu 0xfffd
	v_cndmask_b32_e32 v18, 0, v89, vcc_lo
	s_and_b32 vcc_lo, s0, vcc_lo
	s_wait_alu 0xfffe
	s_delay_alu instid0(VALU_DEP_2) | instskip(NEXT) | instid1(VALU_DEP_2)
	v_cndmask_b32_e32 v70, 0, v88, vcc_lo
	v_cndmask_b32_e64 v71, 0x3ff00000, v18, s0
	s_mov_b32 s0, 0xe2308c3a
	s_mov_b32 s1, 0x3e45798e
	s_delay_alu instid0(VALU_DEP_1) | instskip(NEXT) | instid1(VALU_DEP_1)
	v_fma_f64 v[66:67], v[70:71], v[66:67], 0x40540000
	v_div_scale_f64 v[70:71], null, v[66:67], v[66:67], v[64:65]
	s_delay_alu instid0(VALU_DEP_1) | instskip(NEXT) | instid1(TRANS32_DEP_1)
	v_rcp_f64_e32 v[88:89], v[70:71]
	v_fma_f64 v[94:95], -v[70:71], v[88:89], 1.0
	s_delay_alu instid0(VALU_DEP_1) | instskip(NEXT) | instid1(VALU_DEP_1)
	v_fma_f64 v[88:89], v[88:89], v[94:95], v[88:89]
	v_fma_f64 v[94:95], -v[70:71], v[88:89], 1.0
	s_delay_alu instid0(VALU_DEP_1) | instskip(SKIP_1) | instid1(VALU_DEP_1)
	v_fma_f64 v[88:89], v[88:89], v[94:95], v[88:89]
	v_div_scale_f64 v[94:95], vcc_lo, v[64:65], v[66:67], v[64:65]
	v_mul_f64_e32 v[96:97], v[94:95], v[88:89]
	s_delay_alu instid0(VALU_DEP_1) | instskip(SKIP_1) | instid1(VALU_DEP_1)
	v_fma_f64 v[70:71], -v[70:71], v[96:97], v[94:95]
	s_wait_alu 0xfffd
	v_div_fmas_f64 v[70:71], v[70:71], v[88:89], v[96:97]
	s_delay_alu instid0(VALU_DEP_1) | instskip(SKIP_1) | instid1(VALU_DEP_1)
	v_div_fixup_f64 v[64:65], v[70:71], v[66:67], v[64:65]
	v_div_scale_f64 v[70:71], null, v[66:67], v[66:67], -1.0
	v_rcp_f64_e32 v[88:89], v[70:71]
	s_delay_alu instid0(TRANS32_DEP_1) | instskip(NEXT) | instid1(VALU_DEP_1)
	v_fma_f64 v[94:95], -v[70:71], v[88:89], 1.0
	v_fma_f64 v[88:89], v[88:89], v[94:95], v[88:89]
	s_delay_alu instid0(VALU_DEP_1) | instskip(NEXT) | instid1(VALU_DEP_1)
	v_fma_f64 v[94:95], -v[70:71], v[88:89], 1.0
	v_fma_f64 v[88:89], v[88:89], v[94:95], v[88:89]
	v_div_scale_f64 v[94:95], vcc_lo, -1.0, v[66:67], -1.0
	s_delay_alu instid0(VALU_DEP_1) | instskip(NEXT) | instid1(VALU_DEP_1)
	v_mul_f64_e32 v[96:97], v[94:95], v[88:89]
	v_fma_f64 v[70:71], -v[70:71], v[96:97], v[94:95]
	s_wait_alu 0xfffd
	s_delay_alu instid0(VALU_DEP_1) | instskip(NEXT) | instid1(VALU_DEP_1)
	v_div_fmas_f64 v[70:71], v[70:71], v[88:89], v[96:97]
	v_div_fixup_f64 v[66:67], v[70:71], v[66:67], -1.0
                                        ; implicit-def: $vgpr70_vgpr71
	s_wait_alu 0xfffe
	s_delay_alu instid0(VALU_DEP_1)
	v_cmp_ngt_f64_e64 s0, |v[66:67]|, s[0:1]
	s_and_saveexec_b32 s1, s0
	s_wait_alu 0xfffe
	s_xor_b32 s0, exec_lo, s1
	s_cbranch_execz .LBB0_11
; %bb.10:
	v_mul_f64_e32 v[70:71], s[12:13], v[64:65]
                                        ; implicit-def: $vgpr66_vgpr67
                                        ; implicit-def: $vgpr64_vgpr65
.LBB0_11:
	s_wait_alu 0xfffe
	s_and_not1_saveexec_b32 s1, s0
	s_cbranch_execz .LBB0_13
; %bb.12:
	v_mul_f64_e32 v[70:71], s[12:13], v[66:67]
	s_mov_b32 s4, 0x6a5dcb37
	s_mov_b32 s5, 0x3e5ade15
	s_delay_alu instid0(VALU_DEP_1) | instskip(SKIP_4) | instid1(VALU_DEP_3)
	v_mul_f64_e32 v[88:89], s[2:3], v[70:71]
	s_mov_b32 s2, 0xfefa39ef
	s_mov_b32 s3, 0xbfe62e42
	v_cmp_nlt_f64_e32 vcc_lo, 0x40900000, v[70:71]
	v_cmp_ngt_f64_e64 s0, 0xc090cc00, v[70:71]
	v_rndne_f64_e32 v[88:89], v[88:89]
	s_wait_alu 0xfffe
	s_delay_alu instid0(VALU_DEP_1) | instskip(SKIP_4) | instid1(VALU_DEP_2)
	v_fma_f64 v[94:95], v[88:89], s[2:3], v[70:71]
	s_mov_b32 s2, 0x3b39803f
	s_mov_b32 s3, 0xbc7abc9e
	v_cvt_i32_f64_e32 v18, v[88:89]
	s_wait_alu 0xfffe
	v_fma_f64 v[94:95], v[88:89], s[2:3], v[94:95]
	s_mov_b32 s2, 0xfca7ab0c
	s_mov_b32 s3, 0x3e928af3
	s_wait_alu 0xfffe
	s_delay_alu instid0(VALU_DEP_1) | instskip(SKIP_3) | instid1(VALU_DEP_1)
	v_fma_f64 v[96:97], v[94:95], s[4:5], s[2:3]
	s_mov_b32 s2, 0x623fde64
	s_mov_b32 s3, 0x3ec71dee
	s_wait_alu 0xfffe
	v_fma_f64 v[96:97], v[94:95], v[96:97], s[2:3]
	s_mov_b32 s2, 0x7c89e6b0
	s_mov_b32 s3, 0x3efa0199
	s_wait_alu 0xfffe
	s_delay_alu instid0(VALU_DEP_1) | instskip(SKIP_3) | instid1(VALU_DEP_1)
	v_fma_f64 v[96:97], v[94:95], v[96:97], s[2:3]
	s_mov_b32 s2, 0x14761f6e
	s_mov_b32 s3, 0x3f2a01a0
	;; [unrolled: 9-line block ×4, first 2 shown]
	s_wait_alu 0xfffe
	v_fma_f64 v[96:97], v[94:95], v[96:97], s[2:3]
	s_mov_b32 s2, 11
	s_mov_b32 s3, 0x3fe00000
	s_wait_alu 0xfffe
	s_delay_alu instid0(VALU_DEP_1) | instskip(NEXT) | instid1(VALU_DEP_1)
	v_fma_f64 v[96:97], v[94:95], v[96:97], s[2:3]
	v_fma_f64 v[96:97], v[94:95], v[96:97], 1.0
	s_delay_alu instid0(VALU_DEP_1) | instskip(NEXT) | instid1(VALU_DEP_1)
	v_fma_f64 v[88:89], v[94:95], v[96:97], 1.0
	v_ldexp_f64 v[88:89], v[88:89], v18
	s_delay_alu instid0(VALU_DEP_1) | instskip(SKIP_1) | instid1(VALU_DEP_1)
	v_add_f64_e32 v[88:89], -1.0, v[88:89]
	s_wait_alu 0xfffd
	v_cndmask_b32_e32 v18, 0x7ff00000, v89, vcc_lo
	s_and_b32 vcc_lo, s0, vcc_lo
	s_wait_alu 0xfffe
	s_delay_alu instid0(VALU_DEP_2) | instskip(NEXT) | instid1(VALU_DEP_2)
	v_cndmask_b32_e32 v70, 0, v88, vcc_lo
	v_cndmask_b32_e64 v71, 0xbff00000, v18, s0
	s_delay_alu instid0(VALU_DEP_1) | instskip(NEXT) | instid1(VALU_DEP_1)
	v_mul_f64_e32 v[64:65], v[64:65], v[70:71]
	v_div_scale_f64 v[70:71], null, v[66:67], v[66:67], v[64:65]
	s_delay_alu instid0(VALU_DEP_1) | instskip(NEXT) | instid1(TRANS32_DEP_1)
	v_rcp_f64_e32 v[88:89], v[70:71]
	v_fma_f64 v[94:95], -v[70:71], v[88:89], 1.0
	s_delay_alu instid0(VALU_DEP_1) | instskip(NEXT) | instid1(VALU_DEP_1)
	v_fma_f64 v[88:89], v[88:89], v[94:95], v[88:89]
	v_fma_f64 v[94:95], -v[70:71], v[88:89], 1.0
	s_delay_alu instid0(VALU_DEP_1) | instskip(SKIP_1) | instid1(VALU_DEP_1)
	v_fma_f64 v[88:89], v[88:89], v[94:95], v[88:89]
	v_div_scale_f64 v[94:95], vcc_lo, v[64:65], v[66:67], v[64:65]
	v_mul_f64_e32 v[96:97], v[94:95], v[88:89]
	s_delay_alu instid0(VALU_DEP_1) | instskip(SKIP_1) | instid1(VALU_DEP_1)
	v_fma_f64 v[70:71], -v[70:71], v[96:97], v[94:95]
	s_wait_alu 0xfffd
	v_div_fmas_f64 v[70:71], v[70:71], v[88:89], v[96:97]
	s_delay_alu instid0(VALU_DEP_1)
	v_div_fixup_f64 v[70:71], v[70:71], v[66:67], v[64:65]
.LBB0_13:
	s_wait_alu 0xfffe
	s_or_b32 exec_lo, exec_lo, s1
	s_delay_alu instid0(VALU_DEP_1)
	v_add_f64_e32 v[64:65], v[78:79], v[70:71]
	s_mov_b32 s0, 0xf8a106f3
	s_mov_b32 s1, 0xbfbc5995
	;; [unrolled: 1-line block ×6, first 2 shown]
	global_store_b64 v[174:175], v[64:65], off
	s_wait_alu 0xfffe
	v_mul_f64_e32 v[64:65], s[0:1], v[2:3]
	s_mov_b32 s0, 0x9f942391
	s_mov_b32 s1, 0x3f5e2ecb
	s_delay_alu instid0(VALU_DEP_1) | instskip(SKIP_1) | instid1(VALU_DEP_2)
	v_mul_f64_e32 v[66:67], s[2:3], v[64:65]
	v_cmp_nlt_f64_e32 vcc_lo, 0x40900000, v[64:65]
	v_rndne_f64_e32 v[66:67], v[66:67]
	s_delay_alu instid0(VALU_DEP_1) | instskip(SKIP_1) | instid1(VALU_DEP_2)
	v_fma_f64 v[70:71], v[66:67], s[4:5], v[64:65]
	v_cvt_i32_f64_e32 v18, v[66:67]
	v_fma_f64 v[70:71], v[66:67], s[6:7], v[70:71]
	s_delay_alu instid0(VALU_DEP_1) | instskip(NEXT) | instid1(VALU_DEP_1)
	v_fma_f64 v[88:89], v[70:71], s[14:15], s[8:9]
	v_fma_f64 v[88:89], v[70:71], v[88:89], s[16:17]
	s_delay_alu instid0(VALU_DEP_1) | instskip(NEXT) | instid1(VALU_DEP_1)
	v_fma_f64 v[88:89], v[70:71], v[88:89], s[18:19]
	;; [unrolled: 3-line block ×5, first 2 shown]
	v_fma_f64 v[88:89], v[70:71], v[88:89], 1.0
	s_delay_alu instid0(VALU_DEP_1) | instskip(NEXT) | instid1(VALU_DEP_1)
	v_fma_f64 v[70:71], v[70:71], v[88:89], 1.0
	v_ldexp_f64 v[66:67], v[70:71], v18
	s_wait_alu 0xfffe
	s_delay_alu instid0(VALU_DEP_1) | instskip(SKIP_2) | instid1(VALU_DEP_2)
	v_fma_f64 v[66:67], v[66:67], s[0:1], 1.0
	v_cmp_ngt_f64_e64 s0, 0xc090cc00, v[64:65]
	s_wait_alu 0xfffd
	v_cndmask_b32_e32 v18, 0x7ff00000, v67, vcc_lo
	s_and_b32 vcc_lo, s0, vcc_lo
	s_wait_alu 0xfffe
	v_cndmask_b32_e32 v64, 0, v66, vcc_lo
	s_delay_alu instid0(VALU_DEP_2) | instskip(NEXT) | instid1(VALU_DEP_1)
	v_cndmask_b32_e64 v65, 0x3ff00000, v18, s0
	v_mul_f64_e32 v[64:65], v[64:65], v[64:65]
	s_delay_alu instid0(VALU_DEP_1) | instskip(NEXT) | instid1(VALU_DEP_1)
	v_div_scale_f64 v[66:67], null, v[64:65], v[64:65], 1.0
	v_rcp_f64_e32 v[70:71], v[66:67]
	s_delay_alu instid0(TRANS32_DEP_1) | instskip(NEXT) | instid1(VALU_DEP_1)
	v_fma_f64 v[88:89], -v[66:67], v[70:71], 1.0
	v_fma_f64 v[70:71], v[70:71], v[88:89], v[70:71]
	s_delay_alu instid0(VALU_DEP_1) | instskip(NEXT) | instid1(VALU_DEP_1)
	v_fma_f64 v[88:89], -v[66:67], v[70:71], 1.0
	v_fma_f64 v[70:71], v[70:71], v[88:89], v[70:71]
	v_div_scale_f64 v[88:89], vcc_lo, 1.0, v[64:65], 1.0
	s_delay_alu instid0(VALU_DEP_1) | instskip(NEXT) | instid1(VALU_DEP_1)
	v_mul_f64_e32 v[94:95], v[88:89], v[70:71]
	v_fma_f64 v[66:67], -v[66:67], v[94:95], v[88:89]
	s_wait_alu 0xfffd
	s_delay_alu instid0(VALU_DEP_1) | instskip(NEXT) | instid1(VALU_DEP_1)
	v_div_fmas_f64 v[66:67], v[66:67], v[70:71], v[94:95]
	v_div_fixup_f64 v[64:65], v[66:67], v[64:65], 1.0
	v_div_scale_f64 v[66:67], null, 0x40140000, 0x40140000, v[2:3]
	s_delay_alu instid0(VALU_DEP_2) | instskip(NEXT) | instid1(VALU_DEP_2)
	v_add_f64_e64 v[64:65], v[64:65], -v[86:87]
	v_rcp_f64_e32 v[70:71], v[66:67]
	s_delay_alu instid0(TRANS32_DEP_1) | instskip(NEXT) | instid1(VALU_DEP_1)
	v_fma_f64 v[88:89], -v[66:67], v[70:71], 1.0
	v_fma_f64 v[70:71], v[70:71], v[88:89], v[70:71]
	s_delay_alu instid0(VALU_DEP_1) | instskip(NEXT) | instid1(VALU_DEP_1)
	v_fma_f64 v[88:89], -v[66:67], v[70:71], 1.0
	v_fma_f64 v[70:71], v[70:71], v[88:89], v[70:71]
	v_div_scale_f64 v[88:89], vcc_lo, v[2:3], 0x40140000, v[2:3]
	s_delay_alu instid0(VALU_DEP_1) | instskip(NEXT) | instid1(VALU_DEP_1)
	v_mul_f64_e32 v[94:95], v[88:89], v[70:71]
	v_fma_f64 v[66:67], -v[66:67], v[94:95], v[88:89]
	s_wait_alu 0xfffd
	s_delay_alu instid0(VALU_DEP_1) | instskip(NEXT) | instid1(VALU_DEP_1)
	v_div_fmas_f64 v[66:67], v[66:67], v[70:71], v[94:95]
	v_div_fixup_f64 v[174:175], v[66:67], 0x40140000, v[2:3]
	s_delay_alu instid0(VALU_DEP_1) | instskip(NEXT) | instid1(VALU_DEP_1)
	v_add_f64_e64 v[66:67], 0xc0280000, -v[174:175]
	v_mul_f64_e32 v[70:71], s[2:3], v[66:67]
	v_cmp_ngt_f64_e64 s0, 0xc090cc00, v[66:67]
	s_delay_alu instid0(VALU_DEP_2) | instskip(NEXT) | instid1(VALU_DEP_1)
	v_rndne_f64_e32 v[70:71], v[70:71]
	v_fma_f64 v[88:89], v[70:71], s[4:5], v[66:67]
	v_cvt_i32_f64_e32 v18, v[70:71]
	s_delay_alu instid0(VALU_DEP_2) | instskip(NEXT) | instid1(VALU_DEP_1)
	v_fma_f64 v[88:89], v[70:71], s[6:7], v[88:89]
	v_fma_f64 v[94:95], v[88:89], s[14:15], s[8:9]
	s_delay_alu instid0(VALU_DEP_1) | instskip(NEXT) | instid1(VALU_DEP_1)
	v_fma_f64 v[94:95], v[88:89], v[94:95], s[16:17]
	v_fma_f64 v[94:95], v[88:89], v[94:95], s[18:19]
	s_delay_alu instid0(VALU_DEP_1) | instskip(NEXT) | instid1(VALU_DEP_1)
	;; [unrolled: 3-line block ×5, first 2 shown]
	v_fma_f64 v[94:95], v[88:89], v[94:95], 1.0
	v_fma_f64 v[88:89], v[88:89], v[94:95], 1.0
	s_delay_alu instid0(VALU_DEP_1) | instskip(NEXT) | instid1(VALU_DEP_1)
	v_ldexp_f64 v[70:71], v[88:89], v18
	v_add_f64_e32 v[70:71], 1.0, v[70:71]
	s_delay_alu instid0(VALU_DEP_1) | instskip(NEXT) | instid1(VALU_DEP_1)
	v_div_scale_f64 v[88:89], null, v[70:71], v[70:71], 1.0
	v_rcp_f64_e32 v[94:95], v[88:89]
	s_delay_alu instid0(TRANS32_DEP_1) | instskip(NEXT) | instid1(VALU_DEP_1)
	v_fma_f64 v[96:97], -v[88:89], v[94:95], 1.0
	v_fma_f64 v[94:95], v[94:95], v[96:97], v[94:95]
	s_delay_alu instid0(VALU_DEP_1) | instskip(NEXT) | instid1(VALU_DEP_1)
	v_fma_f64 v[96:97], -v[88:89], v[94:95], 1.0
	v_fma_f64 v[94:95], v[94:95], v[96:97], v[94:95]
	v_div_scale_f64 v[96:97], vcc_lo, 1.0, v[70:71], 1.0
	s_delay_alu instid0(VALU_DEP_1) | instskip(NEXT) | instid1(VALU_DEP_1)
	v_mul_f64_e32 v[186:187], v[96:97], v[94:95]
	v_fma_f64 v[88:89], -v[88:89], v[186:187], v[96:97]
	s_wait_alu 0xfffd
	s_delay_alu instid0(VALU_DEP_1) | instskip(SKIP_1) | instid1(VALU_DEP_2)
	v_div_fmas_f64 v[88:89], v[88:89], v[94:95], v[186:187]
	v_cmp_nlt_f64_e32 vcc_lo, 0x40900000, v[66:67]
	v_div_fixup_f64 v[70:71], v[88:89], v[70:71], 1.0
	s_wait_alu 0xfffd
	s_delay_alu instid0(VALU_DEP_1) | instskip(SKIP_2) | instid1(VALU_DEP_2)
	v_cndmask_b32_e32 v18, 0, v71, vcc_lo
	s_and_b32 vcc_lo, s0, vcc_lo
	s_wait_alu 0xfffe
	v_cndmask_b32_e32 v66, 0, v70, vcc_lo
	v_add_f64_e32 v[70:71], 0x401c0000, v[174:175]
	v_cndmask_b32_e64 v67, 0x3ff00000, v18, s0
	s_mov_b32 s0, 0x9999999a
	s_mov_b32 s1, 0x3fb99999
	s_delay_alu instid0(VALU_DEP_2) | instskip(NEXT) | instid1(VALU_DEP_1)
	v_mul_f64_e32 v[88:89], s[2:3], v[70:71]
	v_rndne_f64_e32 v[88:89], v[88:89]
	s_delay_alu instid0(VALU_DEP_1) | instskip(SKIP_1) | instid1(VALU_DEP_2)
	v_fma_f64 v[94:95], v[88:89], s[4:5], v[70:71]
	v_cvt_i32_f64_e32 v18, v[88:89]
	v_fma_f64 v[94:95], v[88:89], s[6:7], v[94:95]
	s_delay_alu instid0(VALU_DEP_1) | instskip(NEXT) | instid1(VALU_DEP_1)
	v_fma_f64 v[96:97], v[94:95], s[14:15], s[8:9]
	v_fma_f64 v[96:97], v[94:95], v[96:97], s[16:17]
	s_delay_alu instid0(VALU_DEP_1) | instskip(NEXT) | instid1(VALU_DEP_1)
	v_fma_f64 v[96:97], v[94:95], v[96:97], s[18:19]
	;; [unrolled: 3-line block ×5, first 2 shown]
	v_fma_f64 v[96:97], v[94:95], v[96:97], 1.0
	s_delay_alu instid0(VALU_DEP_1) | instskip(NEXT) | instid1(VALU_DEP_1)
	v_fma_f64 v[94:95], v[94:95], v[96:97], 1.0
	v_ldexp_f64 v[88:89], v[94:95], v18
	s_delay_alu instid0(VALU_DEP_1) | instskip(SKIP_1) | instid1(VALU_DEP_1)
	v_add_f64_e32 v[88:89], 1.0, v[88:89]
	s_wait_alu 0xfffe
	v_div_scale_f64 v[94:95], null, v[88:89], v[88:89], s[0:1]
	s_delay_alu instid0(VALU_DEP_1) | instskip(NEXT) | instid1(TRANS32_DEP_1)
	v_rcp_f64_e32 v[96:97], v[94:95]
	v_fma_f64 v[186:187], -v[94:95], v[96:97], 1.0
	s_delay_alu instid0(VALU_DEP_1) | instskip(NEXT) | instid1(VALU_DEP_1)
	v_fma_f64 v[96:97], v[96:97], v[186:187], v[96:97]
	v_fma_f64 v[186:187], -v[94:95], v[96:97], 1.0
	s_delay_alu instid0(VALU_DEP_1) | instskip(SKIP_1) | instid1(VALU_DEP_1)
	v_fma_f64 v[96:97], v[96:97], v[186:187], v[96:97]
	v_div_scale_f64 v[186:187], vcc_lo, s[0:1], v[88:89], s[0:1]
	v_mul_f64_e32 v[188:189], v[186:187], v[96:97]
	s_delay_alu instid0(VALU_DEP_1) | instskip(SKIP_1) | instid1(VALU_DEP_1)
	v_fma_f64 v[94:95], -v[94:95], v[188:189], v[186:187]
	s_wait_alu 0xfffd
	v_div_fmas_f64 v[94:95], v[94:95], v[96:97], v[188:189]
	v_cmp_nlt_f64_e32 vcc_lo, 0x40900000, v[70:71]
	s_delay_alu instid0(VALU_DEP_2) | instskip(SKIP_1) | instid1(VALU_DEP_1)
	v_div_fixup_f64 v[88:89], v[94:95], v[88:89], s[0:1]
	s_wait_alu 0xfffd
	v_dual_cndmask_b32 v18, 0, v88 :: v_dual_cndmask_b32 v19, 0, v89
	v_div_scale_f64 v[88:89], null, 0x40690000, 0x40690000, v[2:3]
	v_cmp_ngt_f64_e32 vcc_lo, 0xc090cc00, v[70:71]
	s_delay_alu instid0(VALU_DEP_2) | instskip(SKIP_3) | instid1(TRANS32_DEP_1)
	v_rcp_f64_e32 v[94:95], v[88:89]
	s_wait_alu 0xfffd
	v_cndmask_b32_e32 v71, 0x3fb99999, v19, vcc_lo
	v_cndmask_b32_e32 v70, 0x9999999a, v18, vcc_lo
	v_fma_f64 v[96:97], -v[88:89], v[94:95], 1.0
	s_delay_alu instid0(VALU_DEP_1) | instskip(NEXT) | instid1(VALU_DEP_1)
	v_fma_f64 v[94:95], v[94:95], v[96:97], v[94:95]
	v_fma_f64 v[96:97], -v[88:89], v[94:95], 1.0
	s_delay_alu instid0(VALU_DEP_1) | instskip(SKIP_1) | instid1(VALU_DEP_1)
	v_fma_f64 v[94:95], v[94:95], v[96:97], v[94:95]
	v_div_scale_f64 v[96:97], vcc_lo, v[2:3], 0x40690000, v[2:3]
	v_mul_f64_e32 v[186:187], v[96:97], v[94:95]
	s_delay_alu instid0(VALU_DEP_1) | instskip(SKIP_1) | instid1(VALU_DEP_1)
	v_fma_f64 v[88:89], -v[88:89], v[186:187], v[96:97]
	s_wait_alu 0xfffd
	v_div_fmas_f64 v[88:89], v[88:89], v[94:95], v[186:187]
	s_delay_alu instid0(VALU_DEP_1) | instskip(NEXT) | instid1(VALU_DEP_1)
	v_div_fixup_f64 v[88:89], v[88:89], 0x40690000, v[2:3]
	v_add_f64_e32 v[88:89], 0xbfd00000, v[88:89]
	s_delay_alu instid0(VALU_DEP_1) | instskip(NEXT) | instid1(VALU_DEP_1)
	v_mul_f64_e32 v[94:95], s[2:3], v[88:89]
	v_rndne_f64_e32 v[94:95], v[94:95]
	s_delay_alu instid0(VALU_DEP_1) | instskip(SKIP_1) | instid1(VALU_DEP_2)
	v_fma_f64 v[96:97], v[94:95], s[4:5], v[88:89]
	v_cvt_i32_f64_e32 v18, v[94:95]
	v_fma_f64 v[96:97], v[94:95], s[6:7], v[96:97]
	s_delay_alu instid0(VALU_DEP_1) | instskip(NEXT) | instid1(VALU_DEP_1)
	v_fma_f64 v[186:187], v[96:97], s[14:15], s[8:9]
	v_fma_f64 v[186:187], v[96:97], v[186:187], s[16:17]
	s_delay_alu instid0(VALU_DEP_1) | instskip(NEXT) | instid1(VALU_DEP_1)
	v_fma_f64 v[186:187], v[96:97], v[186:187], s[18:19]
	;; [unrolled: 3-line block ×5, first 2 shown]
	v_fma_f64 v[186:187], v[96:97], v[186:187], 1.0
	s_delay_alu instid0(VALU_DEP_1) | instskip(NEXT) | instid1(VALU_DEP_1)
	v_fma_f64 v[96:97], v[96:97], v[186:187], 1.0
	v_ldexp_f64 v[94:95], v[96:97], v18
	s_delay_alu instid0(VALU_DEP_1) | instskip(NEXT) | instid1(VALU_DEP_1)
	v_add_f64_e32 v[94:95], 1.0, v[94:95]
	v_div_scale_f64 v[96:97], null, v[94:95], v[94:95], s[0:1]
	s_delay_alu instid0(VALU_DEP_1) | instskip(NEXT) | instid1(TRANS32_DEP_1)
	v_rcp_f64_e32 v[186:187], v[96:97]
	v_fma_f64 v[188:189], -v[96:97], v[186:187], 1.0
	s_delay_alu instid0(VALU_DEP_1) | instskip(NEXT) | instid1(VALU_DEP_1)
	v_fma_f64 v[186:187], v[186:187], v[188:189], v[186:187]
	v_fma_f64 v[188:189], -v[96:97], v[186:187], 1.0
	s_delay_alu instid0(VALU_DEP_1) | instskip(SKIP_1) | instid1(VALU_DEP_1)
	v_fma_f64 v[186:187], v[186:187], v[188:189], v[186:187]
	v_div_scale_f64 v[188:189], vcc_lo, s[0:1], v[94:95], s[0:1]
	v_mul_f64_e32 v[190:191], v[188:189], v[186:187]
	s_delay_alu instid0(VALU_DEP_1) | instskip(SKIP_1) | instid1(VALU_DEP_1)
	v_fma_f64 v[96:97], -v[96:97], v[190:191], v[188:189]
	s_wait_alu 0xfffd
	v_div_fmas_f64 v[96:97], v[96:97], v[186:187], v[190:191]
	v_cmp_nlt_f64_e32 vcc_lo, 0x40900000, v[88:89]
	s_delay_alu instid0(VALU_DEP_2) | instskip(SKIP_3) | instid1(VALU_DEP_1)
	v_div_fixup_f64 v[94:95], v[96:97], v[94:95], s[0:1]
	s_mov_b32 s0, 0xe2308c3a
	s_mov_b32 s1, 0x3e45798e
	s_wait_alu 0xfffd
	v_dual_cndmask_b32 v18, 0, v94 :: v_dual_cndmask_b32 v19, 0, v95
	v_cmp_ngt_f64_e32 vcc_lo, 0xc090cc00, v[88:89]
	s_wait_alu 0xfffd
	s_delay_alu instid0(VALU_DEP_2) | instskip(NEXT) | instid1(VALU_DEP_3)
	v_cndmask_b32_e32 v89, 0x3fb99999, v19, vcc_lo
	v_cndmask_b32_e32 v88, 0x9999999a, v18, vcc_lo
	s_delay_alu instid0(VALU_DEP_1) | instskip(NEXT) | instid1(VALU_DEP_1)
	v_add_f64_e32 v[70:71], v[70:71], v[88:89]
	v_mul_f64_e32 v[66:67], v[66:67], v[70:71]
	s_delay_alu instid0(VALU_DEP_1) | instskip(NEXT) | instid1(VALU_DEP_1)
	v_div_scale_f64 v[70:71], null, v[66:67], v[66:67], v[64:65]
	v_rcp_f64_e32 v[88:89], v[70:71]
	s_delay_alu instid0(TRANS32_DEP_1) | instskip(NEXT) | instid1(VALU_DEP_1)
	v_fma_f64 v[94:95], -v[70:71], v[88:89], 1.0
	v_fma_f64 v[88:89], v[88:89], v[94:95], v[88:89]
	s_delay_alu instid0(VALU_DEP_1) | instskip(NEXT) | instid1(VALU_DEP_1)
	v_fma_f64 v[94:95], -v[70:71], v[88:89], 1.0
	v_fma_f64 v[88:89], v[88:89], v[94:95], v[88:89]
	v_div_scale_f64 v[94:95], vcc_lo, v[64:65], v[66:67], v[64:65]
	s_delay_alu instid0(VALU_DEP_1) | instskip(NEXT) | instid1(VALU_DEP_1)
	v_mul_f64_e32 v[96:97], v[94:95], v[88:89]
	v_fma_f64 v[70:71], -v[70:71], v[96:97], v[94:95]
	s_wait_alu 0xfffd
	s_delay_alu instid0(VALU_DEP_1) | instskip(NEXT) | instid1(VALU_DEP_1)
	v_div_fmas_f64 v[70:71], v[70:71], v[88:89], v[96:97]
	v_div_fixup_f64 v[64:65], v[70:71], v[66:67], v[64:65]
	v_div_scale_f64 v[70:71], null, v[66:67], v[66:67], -1.0
	s_delay_alu instid0(VALU_DEP_1) | instskip(NEXT) | instid1(TRANS32_DEP_1)
	v_rcp_f64_e32 v[88:89], v[70:71]
	v_fma_f64 v[94:95], -v[70:71], v[88:89], 1.0
	s_delay_alu instid0(VALU_DEP_1) | instskip(NEXT) | instid1(VALU_DEP_1)
	v_fma_f64 v[88:89], v[88:89], v[94:95], v[88:89]
	v_fma_f64 v[94:95], -v[70:71], v[88:89], 1.0
	s_delay_alu instid0(VALU_DEP_1) | instskip(SKIP_1) | instid1(VALU_DEP_1)
	v_fma_f64 v[88:89], v[88:89], v[94:95], v[88:89]
	v_div_scale_f64 v[94:95], vcc_lo, -1.0, v[66:67], -1.0
	v_mul_f64_e32 v[96:97], v[94:95], v[88:89]
	s_delay_alu instid0(VALU_DEP_1) | instskip(SKIP_1) | instid1(VALU_DEP_1)
	v_fma_f64 v[70:71], -v[70:71], v[96:97], v[94:95]
	s_wait_alu 0xfffd
	v_div_fmas_f64 v[70:71], v[70:71], v[88:89], v[96:97]
	s_delay_alu instid0(VALU_DEP_1) | instskip(SKIP_1) | instid1(VALU_DEP_1)
	v_div_fixup_f64 v[66:67], v[70:71], v[66:67], -1.0
                                        ; implicit-def: $vgpr70_vgpr71
	s_wait_alu 0xfffe
	v_cmp_ngt_f64_e64 s0, |v[66:67]|, s[0:1]
	s_and_saveexec_b32 s1, s0
	s_wait_alu 0xfffe
	s_xor_b32 s0, exec_lo, s1
	s_cbranch_execz .LBB0_15
; %bb.14:
	v_mul_f64_e32 v[70:71], s[12:13], v[64:65]
                                        ; implicit-def: $vgpr66_vgpr67
                                        ; implicit-def: $vgpr64_vgpr65
.LBB0_15:
	s_wait_alu 0xfffe
	s_and_not1_saveexec_b32 s1, s0
	s_cbranch_execz .LBB0_17
; %bb.16:
	v_mul_f64_e32 v[70:71], s[12:13], v[66:67]
	s_mov_b32 s4, 0x6a5dcb37
	s_mov_b32 s5, 0x3e5ade15
	s_delay_alu instid0(VALU_DEP_1) | instskip(SKIP_4) | instid1(VALU_DEP_3)
	v_mul_f64_e32 v[88:89], s[2:3], v[70:71]
	s_mov_b32 s2, 0xfefa39ef
	s_mov_b32 s3, 0xbfe62e42
	v_cmp_nlt_f64_e32 vcc_lo, 0x40900000, v[70:71]
	v_cmp_ngt_f64_e64 s0, 0xc090cc00, v[70:71]
	v_rndne_f64_e32 v[88:89], v[88:89]
	s_wait_alu 0xfffe
	s_delay_alu instid0(VALU_DEP_1) | instskip(SKIP_4) | instid1(VALU_DEP_2)
	v_fma_f64 v[94:95], v[88:89], s[2:3], v[70:71]
	s_mov_b32 s2, 0x3b39803f
	s_mov_b32 s3, 0xbc7abc9e
	v_cvt_i32_f64_e32 v18, v[88:89]
	s_wait_alu 0xfffe
	v_fma_f64 v[94:95], v[88:89], s[2:3], v[94:95]
	s_mov_b32 s2, 0xfca7ab0c
	s_mov_b32 s3, 0x3e928af3
	s_wait_alu 0xfffe
	s_delay_alu instid0(VALU_DEP_1) | instskip(SKIP_3) | instid1(VALU_DEP_1)
	v_fma_f64 v[96:97], v[94:95], s[4:5], s[2:3]
	s_mov_b32 s2, 0x623fde64
	s_mov_b32 s3, 0x3ec71dee
	s_wait_alu 0xfffe
	v_fma_f64 v[96:97], v[94:95], v[96:97], s[2:3]
	s_mov_b32 s2, 0x7c89e6b0
	s_mov_b32 s3, 0x3efa0199
	s_wait_alu 0xfffe
	s_delay_alu instid0(VALU_DEP_1) | instskip(SKIP_3) | instid1(VALU_DEP_1)
	v_fma_f64 v[96:97], v[94:95], v[96:97], s[2:3]
	s_mov_b32 s2, 0x14761f6e
	s_mov_b32 s3, 0x3f2a01a0
	;; [unrolled: 9-line block ×4, first 2 shown]
	s_wait_alu 0xfffe
	v_fma_f64 v[96:97], v[94:95], v[96:97], s[2:3]
	s_mov_b32 s2, 11
	s_mov_b32 s3, 0x3fe00000
	s_wait_alu 0xfffe
	s_delay_alu instid0(VALU_DEP_1) | instskip(NEXT) | instid1(VALU_DEP_1)
	v_fma_f64 v[96:97], v[94:95], v[96:97], s[2:3]
	v_fma_f64 v[96:97], v[94:95], v[96:97], 1.0
	s_delay_alu instid0(VALU_DEP_1) | instskip(NEXT) | instid1(VALU_DEP_1)
	v_fma_f64 v[88:89], v[94:95], v[96:97], 1.0
	v_ldexp_f64 v[88:89], v[88:89], v18
	s_delay_alu instid0(VALU_DEP_1) | instskip(SKIP_1) | instid1(VALU_DEP_1)
	v_add_f64_e32 v[88:89], -1.0, v[88:89]
	s_wait_alu 0xfffd
	v_cndmask_b32_e32 v18, 0x7ff00000, v89, vcc_lo
	s_and_b32 vcc_lo, s0, vcc_lo
	s_wait_alu 0xfffe
	s_delay_alu instid0(VALU_DEP_2) | instskip(NEXT) | instid1(VALU_DEP_2)
	v_cndmask_b32_e32 v70, 0, v88, vcc_lo
	v_cndmask_b32_e64 v71, 0xbff00000, v18, s0
	s_delay_alu instid0(VALU_DEP_1) | instskip(NEXT) | instid1(VALU_DEP_1)
	v_mul_f64_e32 v[64:65], v[64:65], v[70:71]
	v_div_scale_f64 v[70:71], null, v[66:67], v[66:67], v[64:65]
	s_delay_alu instid0(VALU_DEP_1) | instskip(NEXT) | instid1(TRANS32_DEP_1)
	v_rcp_f64_e32 v[88:89], v[70:71]
	v_fma_f64 v[94:95], -v[70:71], v[88:89], 1.0
	s_delay_alu instid0(VALU_DEP_1) | instskip(NEXT) | instid1(VALU_DEP_1)
	v_fma_f64 v[88:89], v[88:89], v[94:95], v[88:89]
	v_fma_f64 v[94:95], -v[70:71], v[88:89], 1.0
	s_delay_alu instid0(VALU_DEP_1) | instskip(SKIP_1) | instid1(VALU_DEP_1)
	v_fma_f64 v[88:89], v[88:89], v[94:95], v[88:89]
	v_div_scale_f64 v[94:95], vcc_lo, v[64:65], v[66:67], v[64:65]
	v_mul_f64_e32 v[96:97], v[94:95], v[88:89]
	s_delay_alu instid0(VALU_DEP_1) | instskip(SKIP_1) | instid1(VALU_DEP_1)
	v_fma_f64 v[70:71], -v[70:71], v[96:97], v[94:95]
	s_wait_alu 0xfffd
	v_div_fmas_f64 v[70:71], v[70:71], v[88:89], v[96:97]
	s_delay_alu instid0(VALU_DEP_1)
	v_div_fixup_f64 v[70:71], v[70:71], v[66:67], v[64:65]
.LBB0_17:
	s_wait_alu 0xfffe
	s_or_b32 exec_lo, exec_lo, s1
	s_delay_alu instid0(VALU_DEP_1)
	v_add_f64_e32 v[64:65], v[86:87], v[70:71]
	v_cmp_gt_f64_e64 s0, 0xc0440000, v[2:3]
	v_mov_b32_e32 v186, 0
	v_mov_b32_e32 v187, 0
	v_cmp_ngt_f64_e32 vcc_lo, 0xc0440000, v[2:3]
	global_store_b64 v[184:185], v[64:65], off
	s_and_saveexec_b32 s3, s0
	s_cbranch_execz .LBB0_19
; %bb.18:
	s_mov_b32 s4, 0xd2d2d2db
	s_mov_b32 s5, 0xbfc2d2d2
	;; [unrolled: 1-line block ×3, first 2 shown]
	s_wait_alu 0xfffe
	v_mul_f64_e32 v[64:65], s[4:5], v[2:3]
	s_mov_b32 s4, 0x652b82fe
	s_mov_b32 s5, 0x3ff71547
	;; [unrolled: 1-line block ×3, first 2 shown]
	s_wait_alu 0xfffe
	s_delay_alu instid0(VALU_DEP_1) | instskip(SKIP_4) | instid1(VALU_DEP_3)
	v_mul_f64_e32 v[66:67], s[4:5], v[64:65]
	s_mov_b32 s4, 0xfefa39ef
	s_mov_b32 s5, 0xbfe62e42
	v_cmp_nlt_f64_e64 s1, 0x40900000, v[64:65]
	v_cmp_ngt_f64_e64 s2, 0xc090cc00, v[64:65]
	v_rndne_f64_e32 v[66:67], v[66:67]
	s_wait_alu 0xfffe
	s_delay_alu instid0(VALU_DEP_1) | instskip(SKIP_4) | instid1(VALU_DEP_2)
	v_fma_f64 v[70:71], v[66:67], s[4:5], v[64:65]
	s_mov_b32 s4, 0x3b39803f
	s_mov_b32 s5, 0xbc7abc9e
	v_cvt_i32_f64_e32 v18, v[66:67]
	s_wait_alu 0xfffe
	v_fma_f64 v[70:71], v[66:67], s[4:5], v[70:71]
	s_mov_b32 s4, 0xfca7ab0c
	s_mov_b32 s5, 0x3e928af3
	s_wait_alu 0xfffe
	s_delay_alu instid0(VALU_DEP_1) | instskip(SKIP_3) | instid1(VALU_DEP_1)
	v_fma_f64 v[88:89], v[70:71], s[6:7], s[4:5]
	s_mov_b32 s4, 0x623fde64
	s_mov_b32 s5, 0x3ec71dee
	s_wait_alu 0xfffe
	v_fma_f64 v[88:89], v[70:71], v[88:89], s[4:5]
	s_mov_b32 s4, 0x7c89e6b0
	s_mov_b32 s5, 0x3efa0199
	s_wait_alu 0xfffe
	s_delay_alu instid0(VALU_DEP_1) | instskip(SKIP_3) | instid1(VALU_DEP_1)
	v_fma_f64 v[88:89], v[70:71], v[88:89], s[4:5]
	s_mov_b32 s4, 0x14761f6e
	s_mov_b32 s5, 0x3f2a01a0
	;; [unrolled: 9-line block ×4, first 2 shown]
	s_wait_alu 0xfffe
	v_fma_f64 v[88:89], v[70:71], v[88:89], s[4:5]
	s_mov_b32 s4, 11
	s_mov_b32 s5, 0x3fe00000
	s_wait_alu 0xfffe
	s_delay_alu instid0(VALU_DEP_1) | instskip(SKIP_2) | instid1(VALU_DEP_1)
	v_fma_f64 v[88:89], v[70:71], v[88:89], s[4:5]
	s_mov_b32 s4, 0x3ee93363
	s_mov_b32 s5, 0x3e9dbcdc
	v_fma_f64 v[88:89], v[70:71], v[88:89], 1.0
	s_delay_alu instid0(VALU_DEP_1) | instskip(NEXT) | instid1(VALU_DEP_1)
	v_fma_f64 v[66:67], v[70:71], v[88:89], 1.0
	v_ldexp_f64 v[66:67], v[66:67], v18
	s_wait_alu 0xfffe
	s_delay_alu instid0(VALU_DEP_1) | instskip(SKIP_1) | instid1(VALU_DEP_1)
	v_mul_f64_e32 v[66:67], s[4:5], v[66:67]
	s_wait_alu 0xf1ff
	v_cndmask_b32_e64 v18, 0x7ff00000, v67, s1
	s_and_b32 s1, s2, s1
	s_wait_alu 0xfffe
	s_delay_alu instid0(VALU_DEP_2) | instskip(NEXT) | instid1(VALU_DEP_2)
	v_cndmask_b32_e64 v186, 0, v66, s1
	v_cndmask_b32_e64 v187, 0, v18, s2
.LBB0_19:
	s_wait_alu 0xfffe
	s_or_b32 exec_lo, exec_lo, s3
                                        ; implicit-def: $vgpr64_vgpr65
	s_and_saveexec_b32 s1, vcc_lo
	s_wait_alu 0xfffe
	s_xor_b32 s1, exec_lo, s1
	s_cbranch_execz .LBB0_21
; %bb.20:
	s_mov_b32 s2, 0xe6a17103
	s_mov_b32 s3, 0xbfb71024
	;; [unrolled: 1-line block ×3, first 2 shown]
	s_wait_alu 0xfffe
	v_mul_f64_e32 v[64:65], s[2:3], v[2:3]
	s_mov_b32 s2, 0x652b82fe
	s_mov_b32 s3, 0x3ff71547
	;; [unrolled: 1-line block ×3, first 2 shown]
	s_wait_alu 0xfffe
	s_delay_alu instid0(VALU_DEP_1) | instskip(SKIP_2) | instid1(VALU_DEP_1)
	v_mul_f64_e32 v[66:67], s[2:3], v[64:65]
	s_mov_b32 s2, 0xfefa39ef
	s_mov_b32 s3, 0xbfe62e42
	v_rndne_f64_e32 v[66:67], v[66:67]
	s_wait_alu 0xfffe
	s_delay_alu instid0(VALU_DEP_1) | instskip(SKIP_4) | instid1(VALU_DEP_2)
	v_fma_f64 v[70:71], v[66:67], s[2:3], v[64:65]
	s_mov_b32 s2, 0x3b39803f
	s_mov_b32 s3, 0xbc7abc9e
	v_cvt_i32_f64_e32 v18, v[66:67]
	s_wait_alu 0xfffe
	v_fma_f64 v[70:71], v[66:67], s[2:3], v[70:71]
	s_mov_b32 s2, 0xfca7ab0c
	s_mov_b32 s3, 0x3e928af3
	s_wait_alu 0xfffe
	s_delay_alu instid0(VALU_DEP_1)
	v_fma_f64 v[88:89], v[70:71], s[4:5], s[2:3]
	s_mov_b32 s2, 0x623fde64
	s_mov_b32 s3, 0x3ec71dee
	;; [unrolled: 1-line block ×4, first 2 shown]
	s_wait_alu 0xfffe
	s_delay_alu instid0(VALU_DEP_1) | instskip(SKIP_3) | instid1(VALU_DEP_1)
	v_fma_f64 v[88:89], v[70:71], v[88:89], s[2:3]
	s_mov_b32 s2, 0x7c89e6b0
	s_mov_b32 s3, 0x3efa0199
	s_wait_alu 0xfffe
	v_fma_f64 v[88:89], v[70:71], v[88:89], s[2:3]
	s_mov_b32 s2, 0x14761f6e
	s_mov_b32 s3, 0x3f2a01a0
	s_wait_alu 0xfffe
	s_delay_alu instid0(VALU_DEP_1) | instskip(SKIP_3) | instid1(VALU_DEP_1)
	v_fma_f64 v[88:89], v[70:71], v[88:89], s[2:3]
	s_mov_b32 s2, 0x1852b7b0
	s_mov_b32 s3, 0x3f56c16c
	s_wait_alu 0xfffe
	v_fma_f64 v[88:89], v[70:71], v[88:89], s[2:3]
	s_mov_b32 s2, 0x11122322
	s_mov_b32 s3, 0x3f811111
	s_wait_alu 0xfffe
	s_delay_alu instid0(VALU_DEP_1) | instskip(SKIP_3) | instid1(VALU_DEP_1)
	v_fma_f64 v[88:89], v[70:71], v[88:89], s[2:3]
	s_mov_b32 s2, 0x555502a1
	s_mov_b32 s3, 0x3fa55555
	s_wait_alu 0xfffe
	v_fma_f64 v[88:89], v[70:71], v[88:89], s[2:3]
	s_mov_b32 s2, 0x55555511
	s_mov_b32 s3, 0x3fc55555
	s_wait_alu 0xfffe
	s_delay_alu instid0(VALU_DEP_1) | instskip(SKIP_3) | instid1(VALU_DEP_1)
	v_fma_f64 v[88:89], v[70:71], v[88:89], s[2:3]
	s_mov_b32 s2, 11
	s_mov_b32 s3, 0x3fe00000
	s_wait_alu 0xfffe
	v_fma_f64 v[88:89], v[70:71], v[88:89], s[2:3]
	s_mov_b32 s3, 0x3fc0a3d7
	s_mov_b32 s2, 0xa3d70a4
	s_delay_alu instid0(VALU_DEP_1) | instskip(NEXT) | instid1(VALU_DEP_1)
	v_fma_f64 v[88:89], v[70:71], v[88:89], 1.0
	v_fma_f64 v[66:67], v[70:71], v[88:89], 1.0
	s_delay_alu instid0(VALU_DEP_1) | instskip(SKIP_1) | instid1(VALU_DEP_1)
	v_ldexp_f64 v[66:67], v[66:67], v18
	s_wait_alu 0xfffe
	v_fma_f64 v[66:67], v[66:67], s[4:5], s[2:3]
	s_mov_b32 s3, 0x3fe8a3d7
	s_wait_alu 0xfffe
	s_delay_alu instid0(VALU_DEP_1) | instskip(SKIP_1) | instid1(VALU_DEP_2)
	v_div_scale_f64 v[70:71], null, v[66:67], v[66:67], s[2:3]
	v_div_scale_f64 v[96:97], vcc_lo, s[2:3], v[66:67], s[2:3]
	v_rcp_f64_e32 v[88:89], v[70:71]
	s_delay_alu instid0(TRANS32_DEP_1) | instskip(NEXT) | instid1(VALU_DEP_1)
	v_fma_f64 v[94:95], -v[70:71], v[88:89], 1.0
	v_fma_f64 v[88:89], v[88:89], v[94:95], v[88:89]
	s_delay_alu instid0(VALU_DEP_1) | instskip(NEXT) | instid1(VALU_DEP_1)
	v_fma_f64 v[94:95], -v[70:71], v[88:89], 1.0
	v_fma_f64 v[88:89], v[88:89], v[94:95], v[88:89]
	s_delay_alu instid0(VALU_DEP_1) | instskip(NEXT) | instid1(VALU_DEP_1)
	v_mul_f64_e32 v[94:95], v[96:97], v[88:89]
	v_fma_f64 v[70:71], -v[70:71], v[94:95], v[96:97]
	s_wait_alu 0xfffd
	s_delay_alu instid0(VALU_DEP_1) | instskip(SKIP_1) | instid1(VALU_DEP_2)
	v_div_fmas_f64 v[70:71], v[70:71], v[88:89], v[94:95]
	v_cmp_nlt_f64_e32 vcc_lo, 0x40900000, v[64:65]
	v_div_fixup_f64 v[66:67], v[70:71], v[66:67], s[2:3]
	s_wait_alu 0xfffd
	s_delay_alu instid0(VALU_DEP_1) | instskip(SKIP_2) | instid1(VALU_DEP_2)
	v_dual_cndmask_b32 v18, 0, v66 :: v_dual_cndmask_b32 v19, 0, v67
	v_cmp_ngt_f64_e32 vcc_lo, 0xc090cc00, v[64:65]
	s_wait_alu 0xfffd
	v_cndmask_b32_e32 v65, 0x4017b13b, v19, vcc_lo
	s_delay_alu instid0(VALU_DEP_3)
	v_cndmask_b32_e32 v64, 0x13b13b14, v18, vcc_lo
	s_and_not1_saveexec_b32 s33, s1
	s_cbranch_execnz .LBB0_22
	s_branch .LBB0_23
.LBB0_21:
	s_wait_alu 0xfffe
	s_and_not1_saveexec_b32 s33, s1
	s_cbranch_execz .LBB0_23
.LBB0_22:
	s_mov_b32 s2, 0xf1a9fbe7
	s_mov_b32 s3, 0x3fd64dd2
	;; [unrolled: 1-line block ×3, first 2 shown]
	s_wait_alu 0xfffe
	v_mul_f64_e32 v[64:65], s[2:3], v[2:3]
	s_mov_b32 s31, 0x3ff71547
	s_mov_b32 s28, 0xfefa39ef
	;; [unrolled: 1-line block ×25, first 2 shown]
	s_wait_alu 0xfffe
	s_delay_alu instid0(VALU_DEP_1) | instskip(SKIP_2) | instid1(VALU_DEP_3)
	v_mul_f64_e32 v[66:67], s[30:31], v[64:65]
	v_cmp_nlt_f64_e32 vcc_lo, 0x40900000, v[64:65]
	v_cmp_ngt_f64_e64 s1, 0xc090cc00, v[64:65]
	v_rndne_f64_e32 v[66:67], v[66:67]
	s_delay_alu instid0(VALU_DEP_1) | instskip(SKIP_1) | instid1(VALU_DEP_2)
	v_fma_f64 v[70:71], v[66:67], s[28:29], v[64:65]
	v_cvt_i32_f64_e32 v18, v[66:67]
	v_fma_f64 v[70:71], v[66:67], s[26:27], v[70:71]
	s_delay_alu instid0(VALU_DEP_1) | instskip(NEXT) | instid1(VALU_DEP_1)
	v_fma_f64 v[88:89], v[70:71], s[24:25], s[20:21]
	v_fma_f64 v[88:89], v[70:71], v[88:89], s[22:23]
	s_delay_alu instid0(VALU_DEP_1) | instskip(NEXT) | instid1(VALU_DEP_1)
	v_fma_f64 v[88:89], v[70:71], v[88:89], s[18:19]
	;; [unrolled: 3-line block ×5, first 2 shown]
	v_fma_f64 v[88:89], v[70:71], v[88:89], 1.0
	s_delay_alu instid0(VALU_DEP_1) | instskip(NEXT) | instid1(VALU_DEP_1)
	v_fma_f64 v[70:71], v[70:71], v[88:89], 1.0
	v_ldexp_f64 v[66:67], v[70:71], v18
	s_delay_alu instid0(VALU_DEP_1) | instskip(SKIP_1) | instid1(VALU_DEP_1)
	v_mul_f64_e32 v[66:67], 0x4112ebc0, v[66:67]
	s_wait_alu 0xfffd
	v_cndmask_b32_e32 v18, 0x7ff00000, v67, vcc_lo
	s_and_b32 vcc_lo, s1, vcc_lo
	s_wait_alu 0xfffe
	s_delay_alu instid0(VALU_DEP_2) | instskip(SKIP_2) | instid1(VALU_DEP_2)
	v_cndmask_b32_e32 v64, 0, v66, vcc_lo
	v_mul_f64_e32 v[66:67], s[34:35], v[2:3]
	v_cndmask_b32_e64 v65, 0, v18, s1
	v_mul_f64_e32 v[70:71], s[30:31], v[66:67]
	v_cmp_nlt_f64_e32 vcc_lo, 0x40900000, v[66:67]
	v_cmp_ngt_f64_e64 s1, 0xc090cc00, v[66:67]
	s_delay_alu instid0(VALU_DEP_3) | instskip(NEXT) | instid1(VALU_DEP_1)
	v_rndne_f64_e32 v[70:71], v[70:71]
	v_fma_f64 v[88:89], v[70:71], s[28:29], v[66:67]
	v_cvt_i32_f64_e32 v18, v[70:71]
	s_delay_alu instid0(VALU_DEP_2) | instskip(NEXT) | instid1(VALU_DEP_1)
	v_fma_f64 v[88:89], v[70:71], s[26:27], v[88:89]
	v_fma_f64 v[94:95], v[88:89], s[24:25], s[20:21]
	s_delay_alu instid0(VALU_DEP_1) | instskip(NEXT) | instid1(VALU_DEP_1)
	v_fma_f64 v[94:95], v[88:89], v[94:95], s[22:23]
	v_fma_f64 v[94:95], v[88:89], v[94:95], s[18:19]
	s_delay_alu instid0(VALU_DEP_1) | instskip(NEXT) | instid1(VALU_DEP_1)
	;; [unrolled: 3-line block ×4, first 2 shown]
	v_fma_f64 v[94:95], v[88:89], v[94:95], s[4:5]
	v_fma_f64 v[94:95], v[88:89], v[94:95], s[2:3]
	s_mov_b32 s2, 0x9999999a
	s_mov_b32 s3, 0x40059999
	s_delay_alu instid0(VALU_DEP_1) | instskip(NEXT) | instid1(VALU_DEP_1)
	v_fma_f64 v[94:95], v[88:89], v[94:95], 1.0
	v_fma_f64 v[88:89], v[88:89], v[94:95], 1.0
	s_delay_alu instid0(VALU_DEP_1) | instskip(SKIP_1) | instid1(VALU_DEP_1)
	v_ldexp_f64 v[70:71], v[88:89], v18
	s_wait_alu 0xfffe
	v_mul_f64_e32 v[70:71], s[2:3], v[70:71]
	s_wait_alu 0xfffd
	s_delay_alu instid0(VALU_DEP_1) | instskip(SKIP_2) | instid1(VALU_DEP_2)
	v_cndmask_b32_e32 v18, 0x7ff00000, v71, vcc_lo
	s_and_b32 vcc_lo, s1, vcc_lo
	s_wait_alu 0xfffe
	v_cndmask_b32_e32 v66, 0, v70, vcc_lo
	s_delay_alu instid0(VALU_DEP_2) | instskip(NEXT) | instid1(VALU_DEP_1)
	v_cndmask_b32_e64 v67, 0, v18, s1
	v_add_f64_e32 v[64:65], v[64:65], v[66:67]
.LBB0_23:
	s_or_b32 exec_lo, exec_lo, s33
	s_mov_b32 s2, 0x92c72650
	s_mov_b32 s3, 0x3fc13a3a
	;; [unrolled: 1-line block ×3, first 2 shown]
	s_wait_alu 0xfffe
	v_mul_f64_e32 v[66:67], s[2:3], v[2:3]
	s_mov_b32 s2, 0x652b82fe
	s_mov_b32 s3, 0x3ff71547
	;; [unrolled: 1-line block ×3, first 2 shown]
	s_delay_alu instid0(VALU_DEP_2) | instskip(SKIP_1) | instid1(VALU_DEP_2)
	v_add_f64_e32 v[64:65], v[186:187], v[64:65]
	s_wait_alu 0xfffe
	v_mul_f64_e32 v[70:71], s[2:3], v[66:67]
	s_mov_b32 s2, 0xfefa39ef
	s_mov_b32 s3, 0xbfe62e42
	v_cmp_nlt_f64_e32 vcc_lo, 0x40900000, v[66:67]
	v_cmp_ngt_f64_e64 s1, 0xc090cc00, v[66:67]
	s_delay_alu instid0(VALU_DEP_3) | instskip(SKIP_1) | instid1(VALU_DEP_1)
	v_rndne_f64_e32 v[70:71], v[70:71]
	s_wait_alu 0xfffe
	v_fma_f64 v[88:89], v[70:71], s[2:3], v[66:67]
	s_mov_b32 s2, 0x3b39803f
	s_mov_b32 s3, 0xbc7abc9e
	v_cvt_i32_f64_e32 v18, v[70:71]
	s_wait_alu 0xfffe
	s_delay_alu instid0(VALU_DEP_2) | instskip(SKIP_3) | instid1(VALU_DEP_1)
	v_fma_f64 v[88:89], v[70:71], s[2:3], v[88:89]
	s_mov_b32 s2, 0xfca7ab0c
	s_mov_b32 s3, 0x3e928af3
	s_wait_alu 0xfffe
	v_fma_f64 v[94:95], v[88:89], s[4:5], s[2:3]
	s_mov_b32 s2, 0x623fde64
	s_mov_b32 s3, 0x3ec71dee
	s_wait_alu 0xfffe
	s_delay_alu instid0(VALU_DEP_1) | instskip(SKIP_3) | instid1(VALU_DEP_1)
	v_fma_f64 v[94:95], v[88:89], v[94:95], s[2:3]
	s_mov_b32 s2, 0x7c89e6b0
	s_mov_b32 s3, 0x3efa0199
	s_wait_alu 0xfffe
	v_fma_f64 v[94:95], v[88:89], v[94:95], s[2:3]
	s_mov_b32 s2, 0x14761f6e
	s_mov_b32 s3, 0x3f2a01a0
	s_wait_alu 0xfffe
	s_delay_alu instid0(VALU_DEP_1) | instskip(SKIP_3) | instid1(VALU_DEP_1)
	;; [unrolled: 9-line block ×4, first 2 shown]
	v_fma_f64 v[94:95], v[88:89], v[94:95], s[2:3]
	s_mov_b32 s2, 11
	s_mov_b32 s3, 0x3fe00000
	s_wait_alu 0xfffe
	v_fma_f64 v[94:95], v[88:89], v[94:95], s[2:3]
	s_mov_b32 s2, 0xf0c8c96b
	s_mov_b32 s3, 0x40cdb64b
	s_delay_alu instid0(VALU_DEP_1) | instskip(NEXT) | instid1(VALU_DEP_1)
	v_fma_f64 v[94:95], v[88:89], v[94:95], 1.0
	v_fma_f64 v[88:89], v[88:89], v[94:95], 1.0
	s_delay_alu instid0(VALU_DEP_1) | instskip(SKIP_1) | instid1(VALU_DEP_1)
	v_ldexp_f64 v[70:71], v[88:89], v18
	s_wait_alu 0xfffe
	v_fma_f64 v[70:71], v[70:71], s[2:3], 1.0
	s_mov_b32 s2, 0xe2308c3a
	s_mov_b32 s3, 0x3e45798e
	s_wait_alu 0xfffd
	s_delay_alu instid0(VALU_DEP_1) | instskip(SKIP_2) | instid1(VALU_DEP_2)
	v_cndmask_b32_e32 v18, 0x7ff00000, v71, vcc_lo
	s_and_b32 vcc_lo, s1, vcc_lo
	s_wait_alu 0xfffe
	v_cndmask_b32_e32 v66, 0, v70, vcc_lo
	s_delay_alu instid0(VALU_DEP_2) | instskip(NEXT) | instid1(VALU_DEP_1)
	v_cndmask_b32_e64 v67, 0x3ff00000, v18, s1
	v_mul_f64_e32 v[66:67], v[66:67], v[66:67]
	s_delay_alu instid0(VALU_DEP_1) | instskip(NEXT) | instid1(VALU_DEP_1)
	v_div_scale_f64 v[70:71], null, v[66:67], v[66:67], 1.0
	v_rcp_f64_e32 v[88:89], v[70:71]
	s_delay_alu instid0(TRANS32_DEP_1) | instskip(NEXT) | instid1(VALU_DEP_1)
	v_fma_f64 v[94:95], -v[70:71], v[88:89], 1.0
	v_fma_f64 v[88:89], v[88:89], v[94:95], v[88:89]
	s_delay_alu instid0(VALU_DEP_1) | instskip(NEXT) | instid1(VALU_DEP_1)
	v_fma_f64 v[94:95], -v[70:71], v[88:89], 1.0
	v_fma_f64 v[88:89], v[88:89], v[94:95], v[88:89]
	v_div_scale_f64 v[94:95], vcc_lo, 1.0, v[66:67], 1.0
	s_delay_alu instid0(VALU_DEP_1) | instskip(NEXT) | instid1(VALU_DEP_1)
	v_mul_f64_e32 v[96:97], v[94:95], v[88:89]
	v_fma_f64 v[70:71], -v[70:71], v[96:97], v[94:95]
	s_wait_alu 0xfffd
	s_delay_alu instid0(VALU_DEP_1) | instskip(NEXT) | instid1(VALU_DEP_1)
	v_div_fmas_f64 v[70:71], v[70:71], v[88:89], v[96:97]
	v_div_fixup_f64 v[184:185], v[70:71], v[66:67], 1.0
	v_div_scale_f64 v[66:67], null, v[64:65], v[64:65], 1.0
	s_delay_alu instid0(VALU_DEP_1) | instskip(NEXT) | instid1(TRANS32_DEP_1)
	v_rcp_f64_e32 v[70:71], v[66:67]
	v_fma_f64 v[88:89], -v[66:67], v[70:71], 1.0
	s_delay_alu instid0(VALU_DEP_1) | instskip(NEXT) | instid1(VALU_DEP_1)
	v_fma_f64 v[70:71], v[70:71], v[88:89], v[70:71]
	v_fma_f64 v[88:89], -v[66:67], v[70:71], 1.0
	s_delay_alu instid0(VALU_DEP_1) | instskip(SKIP_1) | instid1(VALU_DEP_1)
	v_fma_f64 v[70:71], v[70:71], v[88:89], v[70:71]
	v_div_scale_f64 v[88:89], vcc_lo, 1.0, v[64:65], 1.0
	v_mul_f64_e32 v[94:95], v[88:89], v[70:71]
	s_delay_alu instid0(VALU_DEP_1) | instskip(SKIP_1) | instid1(VALU_DEP_1)
	v_fma_f64 v[66:67], -v[66:67], v[94:95], v[88:89]
	s_wait_alu 0xfffd
	v_div_fmas_f64 v[66:67], v[66:67], v[70:71], v[94:95]
	s_delay_alu instid0(VALU_DEP_1) | instskip(SKIP_1) | instid1(VALU_DEP_1)
	v_div_fixup_f64 v[66:67], v[66:67], v[64:65], 1.0
	v_add_f64_e64 v[64:65], v[184:185], -v[84:85]
	v_div_scale_f64 v[70:71], null, v[66:67], v[66:67], v[64:65]
	s_delay_alu instid0(VALU_DEP_1) | instskip(NEXT) | instid1(TRANS32_DEP_1)
	v_rcp_f64_e32 v[88:89], v[70:71]
	v_fma_f64 v[94:95], -v[70:71], v[88:89], 1.0
	s_delay_alu instid0(VALU_DEP_1) | instskip(NEXT) | instid1(VALU_DEP_1)
	v_fma_f64 v[88:89], v[88:89], v[94:95], v[88:89]
	v_fma_f64 v[94:95], -v[70:71], v[88:89], 1.0
	s_delay_alu instid0(VALU_DEP_1) | instskip(SKIP_1) | instid1(VALU_DEP_1)
	v_fma_f64 v[88:89], v[88:89], v[94:95], v[88:89]
	v_div_scale_f64 v[94:95], vcc_lo, v[64:65], v[66:67], v[64:65]
	v_mul_f64_e32 v[96:97], v[94:95], v[88:89]
	s_delay_alu instid0(VALU_DEP_1) | instskip(SKIP_1) | instid1(VALU_DEP_1)
	v_fma_f64 v[70:71], -v[70:71], v[96:97], v[94:95]
	s_wait_alu 0xfffd
	v_div_fmas_f64 v[70:71], v[70:71], v[88:89], v[96:97]
	s_delay_alu instid0(VALU_DEP_1) | instskip(SKIP_1) | instid1(VALU_DEP_1)
	v_div_fixup_f64 v[64:65], v[70:71], v[66:67], v[64:65]
	v_div_scale_f64 v[70:71], null, v[66:67], v[66:67], -1.0
	v_rcp_f64_e32 v[88:89], v[70:71]
	s_delay_alu instid0(TRANS32_DEP_1) | instskip(NEXT) | instid1(VALU_DEP_1)
	v_fma_f64 v[94:95], -v[70:71], v[88:89], 1.0
	v_fma_f64 v[88:89], v[88:89], v[94:95], v[88:89]
	s_delay_alu instid0(VALU_DEP_1) | instskip(NEXT) | instid1(VALU_DEP_1)
	v_fma_f64 v[94:95], -v[70:71], v[88:89], 1.0
	v_fma_f64 v[88:89], v[88:89], v[94:95], v[88:89]
	v_div_scale_f64 v[94:95], vcc_lo, -1.0, v[66:67], -1.0
	s_delay_alu instid0(VALU_DEP_1) | instskip(NEXT) | instid1(VALU_DEP_1)
	v_mul_f64_e32 v[96:97], v[94:95], v[88:89]
	v_fma_f64 v[70:71], -v[70:71], v[96:97], v[94:95]
	s_wait_alu 0xfffd
	s_delay_alu instid0(VALU_DEP_1) | instskip(NEXT) | instid1(VALU_DEP_1)
	v_div_fmas_f64 v[70:71], v[70:71], v[88:89], v[96:97]
	v_div_fixup_f64 v[66:67], v[70:71], v[66:67], -1.0
                                        ; implicit-def: $vgpr70_vgpr71
	s_delay_alu instid0(VALU_DEP_1)
	v_cmp_ngt_f64_e64 s1, |v[66:67]|, s[2:3]
	s_and_saveexec_b32 s2, s1
	s_wait_alu 0xfffe
	s_xor_b32 s1, exec_lo, s2
	s_cbranch_execz .LBB0_25
; %bb.24:
	v_mul_f64_e32 v[70:71], s[12:13], v[64:65]
                                        ; implicit-def: $vgpr66_vgpr67
                                        ; implicit-def: $vgpr64_vgpr65
.LBB0_25:
	s_wait_alu 0xfffe
	s_and_not1_saveexec_b32 s2, s1
	s_cbranch_execz .LBB0_27
; %bb.26:
	v_mul_f64_e32 v[70:71], s[12:13], v[66:67]
	s_mov_b32 s4, 0x652b82fe
	s_mov_b32 s5, 0x3ff71547
	;; [unrolled: 1-line block ×4, first 2 shown]
	s_wait_alu 0xfffe
	s_delay_alu instid0(VALU_DEP_1) | instskip(SKIP_4) | instid1(VALU_DEP_3)
	v_mul_f64_e32 v[88:89], s[4:5], v[70:71]
	s_mov_b32 s4, 0xfefa39ef
	s_mov_b32 s5, 0xbfe62e42
	v_cmp_nlt_f64_e32 vcc_lo, 0x40900000, v[70:71]
	v_cmp_ngt_f64_e64 s1, 0xc090cc00, v[70:71]
	v_rndne_f64_e32 v[88:89], v[88:89]
	s_wait_alu 0xfffe
	s_delay_alu instid0(VALU_DEP_1) | instskip(SKIP_4) | instid1(VALU_DEP_2)
	v_fma_f64 v[94:95], v[88:89], s[4:5], v[70:71]
	s_mov_b32 s4, 0x3b39803f
	s_mov_b32 s5, 0xbc7abc9e
	v_cvt_i32_f64_e32 v18, v[88:89]
	s_wait_alu 0xfffe
	v_fma_f64 v[94:95], v[88:89], s[4:5], v[94:95]
	s_mov_b32 s4, 0xfca7ab0c
	s_mov_b32 s5, 0x3e928af3
	s_wait_alu 0xfffe
	s_delay_alu instid0(VALU_DEP_1) | instskip(SKIP_3) | instid1(VALU_DEP_1)
	v_fma_f64 v[96:97], v[94:95], s[6:7], s[4:5]
	s_mov_b32 s4, 0x623fde64
	s_mov_b32 s5, 0x3ec71dee
	s_wait_alu 0xfffe
	v_fma_f64 v[96:97], v[94:95], v[96:97], s[4:5]
	s_mov_b32 s4, 0x7c89e6b0
	s_mov_b32 s5, 0x3efa0199
	s_wait_alu 0xfffe
	s_delay_alu instid0(VALU_DEP_1) | instskip(SKIP_3) | instid1(VALU_DEP_1)
	v_fma_f64 v[96:97], v[94:95], v[96:97], s[4:5]
	s_mov_b32 s4, 0x14761f6e
	s_mov_b32 s5, 0x3f2a01a0
	;; [unrolled: 9-line block ×4, first 2 shown]
	s_wait_alu 0xfffe
	v_fma_f64 v[96:97], v[94:95], v[96:97], s[4:5]
	s_mov_b32 s4, 11
	s_mov_b32 s5, 0x3fe00000
	s_wait_alu 0xfffe
	s_delay_alu instid0(VALU_DEP_1) | instskip(NEXT) | instid1(VALU_DEP_1)
	v_fma_f64 v[96:97], v[94:95], v[96:97], s[4:5]
	v_fma_f64 v[96:97], v[94:95], v[96:97], 1.0
	s_delay_alu instid0(VALU_DEP_1) | instskip(NEXT) | instid1(VALU_DEP_1)
	v_fma_f64 v[88:89], v[94:95], v[96:97], 1.0
	v_ldexp_f64 v[88:89], v[88:89], v18
	s_delay_alu instid0(VALU_DEP_1) | instskip(SKIP_1) | instid1(VALU_DEP_1)
	v_add_f64_e32 v[88:89], -1.0, v[88:89]
	s_wait_alu 0xfffd
	v_cndmask_b32_e32 v18, 0x7ff00000, v89, vcc_lo
	s_and_b32 vcc_lo, s1, vcc_lo
	s_wait_alu 0xfffe
	s_delay_alu instid0(VALU_DEP_2) | instskip(NEXT) | instid1(VALU_DEP_2)
	v_cndmask_b32_e32 v70, 0, v88, vcc_lo
	v_cndmask_b32_e64 v71, 0xbff00000, v18, s1
	s_delay_alu instid0(VALU_DEP_1) | instskip(NEXT) | instid1(VALU_DEP_1)
	v_mul_f64_e32 v[64:65], v[64:65], v[70:71]
	v_div_scale_f64 v[70:71], null, v[66:67], v[66:67], v[64:65]
	s_delay_alu instid0(VALU_DEP_1) | instskip(NEXT) | instid1(TRANS32_DEP_1)
	v_rcp_f64_e32 v[88:89], v[70:71]
	v_fma_f64 v[94:95], -v[70:71], v[88:89], 1.0
	s_delay_alu instid0(VALU_DEP_1) | instskip(NEXT) | instid1(VALU_DEP_1)
	v_fma_f64 v[88:89], v[88:89], v[94:95], v[88:89]
	v_fma_f64 v[94:95], -v[70:71], v[88:89], 1.0
	s_delay_alu instid0(VALU_DEP_1) | instskip(SKIP_1) | instid1(VALU_DEP_1)
	v_fma_f64 v[88:89], v[88:89], v[94:95], v[88:89]
	v_div_scale_f64 v[94:95], vcc_lo, v[64:65], v[66:67], v[64:65]
	v_mul_f64_e32 v[96:97], v[94:95], v[88:89]
	s_delay_alu instid0(VALU_DEP_1) | instskip(SKIP_1) | instid1(VALU_DEP_1)
	v_fma_f64 v[70:71], -v[70:71], v[96:97], v[94:95]
	s_wait_alu 0xfffd
	v_div_fmas_f64 v[70:71], v[70:71], v[88:89], v[96:97]
	s_delay_alu instid0(VALU_DEP_1)
	v_div_fixup_f64 v[70:71], v[70:71], v[66:67], v[64:65]
.LBB0_27:
	s_wait_alu 0xfffe
	s_or_b32 exec_lo, exec_lo, s2
	s_delay_alu instid0(VALU_DEP_1)
	v_add_f64_e32 v[64:65], v[84:85], v[70:71]
	v_mov_b32_e32 v88, 0x33333333
	v_mov_b32_e32 v89, 0x3fe33333
	;; [unrolled: 1-line block ×8, first 2 shown]
	global_store_b64 v[182:183], v[64:65], off
	v_mov_b32_e32 v64, 0
	v_mov_b32_e32 v65, 0
	s_and_saveexec_b32 s33, s0
	s_cbranch_execz .LBB0_29
; %bb.28:
	s_mov_b32 s0, 0xa3d70a4
	s_mov_b32 s1, 0x4042e3d7
	;; [unrolled: 1-line block ×3, first 2 shown]
	s_wait_alu 0xfffe
	v_add_f64_e32 v[64:65], s[0:1], v[2:3]
	s_mov_b32 s0, 0xcb923a2a
	s_mov_b32 s1, 0x3fcf487f
	s_mov_b32 s31, 0x3ff71547
	s_wait_alu 0xfffe
	v_mul_f64_e32 v[66:67], s[0:1], v[2:3]
	s_mov_b32 s28, 0xfefa39ef
	s_mov_b32 s29, 0xbfe62e42
	;; [unrolled: 1-line block ×24, first 2 shown]
	s_delay_alu instid0(VALU_DEP_1) | instskip(SKIP_2) | instid1(VALU_DEP_3)
	v_mul_f64_e32 v[70:71], s[30:31], v[66:67]
	v_cmp_nlt_f64_e32 vcc_lo, 0x40900000, v[66:67]
	v_cmp_ngt_f64_e64 s0, 0xc090cc00, v[66:67]
	v_rndne_f64_e32 v[70:71], v[70:71]
	s_wait_alu 0xfffe
	s_delay_alu instid0(VALU_DEP_1) | instskip(SKIP_1) | instid1(VALU_DEP_2)
	v_fma_f64 v[88:89], v[70:71], s[28:29], v[66:67]
	v_cvt_i32_f64_e32 v18, v[70:71]
	v_fma_f64 v[88:89], v[70:71], s[24:25], v[88:89]
	s_delay_alu instid0(VALU_DEP_1) | instskip(NEXT) | instid1(VALU_DEP_1)
	v_fma_f64 v[94:95], v[88:89], s[20:21], s[16:17]
	v_fma_f64 v[94:95], v[88:89], v[94:95], s[26:27]
	s_delay_alu instid0(VALU_DEP_1) | instskip(NEXT) | instid1(VALU_DEP_1)
	v_fma_f64 v[94:95], v[88:89], v[94:95], s[22:23]
	;; [unrolled: 3-line block ×5, first 2 shown]
	v_fma_f64 v[94:95], v[88:89], v[94:95], 1.0
	s_delay_alu instid0(VALU_DEP_1) | instskip(NEXT) | instid1(VALU_DEP_1)
	v_fma_f64 v[88:89], v[88:89], v[94:95], 1.0
	v_ldexp_f64 v[70:71], v[88:89], v18
	s_delay_alu instid0(VALU_DEP_1) | instskip(SKIP_1) | instid1(VALU_DEP_1)
	v_mul_f64_e32 v[70:71], 0xc0d8d500, v[70:71]
	s_wait_alu 0xfffd
	v_cndmask_b32_e32 v18, 0xfff00000, v71, vcc_lo
	s_and_b32 vcc_lo, s0, vcc_lo
	s_wait_alu 0xfffe
	s_delay_alu instid0(VALU_DEP_2) | instskip(NEXT) | instid1(VALU_DEP_2)
	v_cndmask_b32_e32 v66, 0, v70, vcc_lo
	v_cndmask_b32_e64 v67, 0x80000000, v18, s0
	s_mov_b32 s0, 0x1bef49cf
	s_mov_b32 s1, 0xbfa67b5f
	s_wait_alu 0xfffe
	v_mul_f64_e32 v[70:71], s[0:1], v[2:3]
	s_mov_b32 s0, 0xb28be17e
	s_mov_b32 s1, 0x3edd245b
	s_delay_alu instid0(VALU_DEP_1) | instskip(SKIP_1) | instid1(VALU_DEP_2)
	v_mul_f64_e32 v[88:89], s[30:31], v[70:71]
	v_cmp_nlt_f64_e32 vcc_lo, 0x40900000, v[70:71]
	v_rndne_f64_e32 v[88:89], v[88:89]
	s_delay_alu instid0(VALU_DEP_1) | instskip(SKIP_1) | instid1(VALU_DEP_2)
	v_fma_f64 v[94:95], v[88:89], s[28:29], v[70:71]
	v_cvt_i32_f64_e32 v18, v[88:89]
	v_fma_f64 v[94:95], v[88:89], s[24:25], v[94:95]
	s_delay_alu instid0(VALU_DEP_1) | instskip(NEXT) | instid1(VALU_DEP_1)
	v_fma_f64 v[96:97], v[94:95], s[20:21], s[16:17]
	v_fma_f64 v[96:97], v[94:95], v[96:97], s[26:27]
	s_delay_alu instid0(VALU_DEP_1) | instskip(NEXT) | instid1(VALU_DEP_1)
	v_fma_f64 v[96:97], v[94:95], v[96:97], s[22:23]
	;; [unrolled: 3-line block ×5, first 2 shown]
	v_fma_f64 v[96:97], v[94:95], v[96:97], 1.0
	s_delay_alu instid0(VALU_DEP_1) | instskip(NEXT) | instid1(VALU_DEP_1)
	v_fma_f64 v[94:95], v[94:95], v[96:97], 1.0
	v_ldexp_f64 v[88:89], v[94:95], v18
	s_wait_alu 0xfffe
	s_delay_alu instid0(VALU_DEP_1) | instskip(SKIP_2) | instid1(VALU_DEP_2)
	v_mul_f64_e32 v[88:89], s[0:1], v[88:89]
	v_cmp_ngt_f64_e64 s0, 0xc090cc00, v[70:71]
	s_wait_alu 0xfffd
	v_cndmask_b32_e32 v18, 0x7ff00000, v89, vcc_lo
	s_and_b32 vcc_lo, s0, vcc_lo
	s_wait_alu 0xfffe
	v_cndmask_b32_e32 v70, 0, v88, vcc_lo
	s_delay_alu instid0(VALU_DEP_2) | instskip(SKIP_2) | instid1(VALU_DEP_1)
	v_cndmask_b32_e64 v71, 0, v18, s0
	s_mov_b32 s0, 0x8b439581
	s_mov_b32 s1, 0x3fd3e76c
	v_add_f64_e64 v[66:67], v[66:67], -v[70:71]
	s_delay_alu instid0(VALU_DEP_1) | instskip(SKIP_4) | instid1(VALU_DEP_1)
	v_mul_f64_e32 v[64:65], v[64:65], v[66:67]
	s_wait_alu 0xfffe
	v_mul_f64_e32 v[66:67], s[0:1], v[2:3]
	s_mov_b32 s0, 0x45c3e873
	s_mov_b32 s1, 0x422767c9
	v_mul_f64_e32 v[70:71], s[30:31], v[66:67]
	v_cmp_nlt_f64_e32 vcc_lo, 0x40900000, v[66:67]
	s_delay_alu instid0(VALU_DEP_2) | instskip(NEXT) | instid1(VALU_DEP_1)
	v_rndne_f64_e32 v[70:71], v[70:71]
	v_fma_f64 v[88:89], v[70:71], s[28:29], v[66:67]
	v_cvt_i32_f64_e32 v18, v[70:71]
	s_delay_alu instid0(VALU_DEP_2) | instskip(NEXT) | instid1(VALU_DEP_1)
	v_fma_f64 v[88:89], v[70:71], s[24:25], v[88:89]
	v_fma_f64 v[94:95], v[88:89], s[20:21], s[16:17]
	s_delay_alu instid0(VALU_DEP_1) | instskip(NEXT) | instid1(VALU_DEP_1)
	v_fma_f64 v[94:95], v[88:89], v[94:95], s[26:27]
	v_fma_f64 v[94:95], v[88:89], v[94:95], s[22:23]
	s_delay_alu instid0(VALU_DEP_1) | instskip(NEXT) | instid1(VALU_DEP_1)
	;; [unrolled: 3-line block ×5, first 2 shown]
	v_fma_f64 v[94:95], v[88:89], v[94:95], 1.0
	v_fma_f64 v[88:89], v[88:89], v[94:95], 1.0
	s_delay_alu instid0(VALU_DEP_1) | instskip(SKIP_1) | instid1(VALU_DEP_1)
	v_ldexp_f64 v[70:71], v[88:89], v18
	s_wait_alu 0xfffe
	v_fma_f64 v[70:71], v[70:71], s[0:1], 1.0
	v_cmp_ngt_f64_e64 s0, 0xc090cc00, v[66:67]
	s_wait_alu 0xfffd
	s_delay_alu instid0(VALU_DEP_2) | instskip(SKIP_3) | instid1(VALU_DEP_2)
	v_cndmask_b32_e32 v18, 0x7ff00000, v71, vcc_lo
	s_and_b32 vcc_lo, s0, vcc_lo
	s_wait_alu 0xfffe
	v_cndmask_b32_e32 v66, 0, v70, vcc_lo
	v_cndmask_b32_e64 v67, 0x3ff00000, v18, s0
	s_delay_alu instid0(VALU_DEP_1) | instskip(NEXT) | instid1(VALU_DEP_1)
	v_div_scale_f64 v[70:71], null, v[66:67], v[66:67], v[64:65]
	v_rcp_f64_e32 v[88:89], v[70:71]
	s_delay_alu instid0(TRANS32_DEP_1) | instskip(NEXT) | instid1(VALU_DEP_1)
	v_fma_f64 v[94:95], -v[70:71], v[88:89], 1.0
	v_fma_f64 v[88:89], v[88:89], v[94:95], v[88:89]
	s_delay_alu instid0(VALU_DEP_1) | instskip(NEXT) | instid1(VALU_DEP_1)
	v_fma_f64 v[94:95], -v[70:71], v[88:89], 1.0
	v_fma_f64 v[88:89], v[88:89], v[94:95], v[88:89]
	v_div_scale_f64 v[94:95], vcc_lo, v[64:65], v[66:67], v[64:65]
	s_delay_alu instid0(VALU_DEP_1) | instskip(NEXT) | instid1(VALU_DEP_1)
	v_mul_f64_e32 v[96:97], v[94:95], v[88:89]
	v_fma_f64 v[70:71], -v[70:71], v[96:97], v[94:95]
	v_mov_b32_e32 v94, 0x7fa1a0cf
	v_mov_b32_e32 v95, 0xbf858b82
	s_wait_alu 0xfffd
	s_delay_alu instid0(VALU_DEP_3) | instskip(SKIP_2) | instid1(VALU_DEP_3)
	v_div_fmas_f64 v[70:71], v[70:71], v[88:89], v[96:97]
	v_mov_b32_e32 v88, 0xdd052935
	v_mov_b32_e32 v89, 0x3f98d25e
	v_div_fixup_f64 v[64:65], v[70:71], v[66:67], v[64:65]
	v_mov_b32_e32 v70, 0x2eb1c433
	v_mov_b32_e32 v71, 0xbfc1a36e
	;; [unrolled: 1-line block ×4, first 2 shown]
.LBB0_29:
	s_or_b32 exec_lo, exec_lo, s33
	v_mul_f64_e32 v[94:95], v[2:3], v[94:95]
	s_mov_b32 s14, 0x652b82fe
	s_mov_b32 s15, 0x3ff71547
	;; [unrolled: 1-line block ×26, first 2 shown]
	v_mul_f64_e32 v[70:71], v[2:3], v[70:71]
	s_wait_alu 0xfffe
	s_delay_alu instid0(VALU_DEP_2) | instskip(SKIP_2) | instid1(VALU_DEP_3)
	v_mul_f64_e32 v[96:97], s[14:15], v[94:95]
	v_cmp_nlt_f64_e32 vcc_lo, 0x40900000, v[94:95]
	v_cmp_ngt_f64_e64 s0, 0xc090cc00, v[94:95]
	v_rndne_f64_e32 v[96:97], v[96:97]
	s_delay_alu instid0(VALU_DEP_1) | instskip(SKIP_2) | instid1(VALU_DEP_3)
	v_fma_f64 v[182:183], v[96:97], s[6:7], v[94:95]
	v_cvt_i32_f64_e32 v18, v[96:97]
	v_mul_f64_e32 v[94:95], s[14:15], v[70:71]
	v_fma_f64 v[182:183], v[96:97], s[8:9], v[182:183]
	s_delay_alu instid0(VALU_DEP_2) | instskip(NEXT) | instid1(VALU_DEP_2)
	v_rndne_f64_e32 v[94:95], v[94:95]
	v_fma_f64 v[186:187], v[182:183], s[4:5], s[2:3]
	s_delay_alu instid0(VALU_DEP_1) | instskip(NEXT) | instid1(VALU_DEP_1)
	v_fma_f64 v[186:187], v[182:183], v[186:187], s[16:17]
	v_fma_f64 v[186:187], v[182:183], v[186:187], s[18:19]
	s_delay_alu instid0(VALU_DEP_1) | instskip(NEXT) | instid1(VALU_DEP_1)
	v_fma_f64 v[186:187], v[182:183], v[186:187], s[20:21]
	;; [unrolled: 3-line block ×4, first 2 shown]
	v_fma_f64 v[186:187], v[182:183], v[186:187], s[30:31]
	s_delay_alu instid0(VALU_DEP_1) | instskip(NEXT) | instid1(VALU_DEP_1)
	v_fma_f64 v[186:187], v[182:183], v[186:187], 1.0
	v_fma_f64 v[182:183], v[182:183], v[186:187], 1.0
	s_delay_alu instid0(VALU_DEP_1) | instskip(NEXT) | instid1(VALU_DEP_1)
	v_ldexp_f64 v[96:97], v[182:183], v18
	v_mul_f64_e32 v[88:89], v[96:97], v[88:89]
	v_fma_f64 v[96:97], v[94:95], s[6:7], v[70:71]
	s_wait_alu 0xfffd
	s_delay_alu instid0(VALU_DEP_2) | instskip(NEXT) | instid1(VALU_DEP_2)
	v_cndmask_b32_e32 v18, 0x7ff00000, v89, vcc_lo
	v_fma_f64 v[96:97], v[94:95], s[8:9], v[96:97]
	s_and_b32 vcc_lo, s0, vcc_lo
	s_wait_alu 0xfffe
	s_delay_alu instid0(VALU_DEP_4)
	v_cndmask_b32_e32 v88, 0, v88, vcc_lo
	v_cndmask_b32_e64 v89, 0, v18, s0
	v_cvt_i32_f64_e32 v18, v[94:95]
	v_cmp_nlt_f64_e32 vcc_lo, 0x40900000, v[70:71]
	v_cmp_ngt_f64_e64 s0, 0xc090cc00, v[70:71]
	v_fma_f64 v[182:183], v[96:97], s[4:5], s[2:3]
	s_delay_alu instid0(VALU_DEP_1) | instskip(NEXT) | instid1(VALU_DEP_1)
	v_fma_f64 v[182:183], v[96:97], v[182:183], s[16:17]
	v_fma_f64 v[182:183], v[96:97], v[182:183], s[18:19]
	s_delay_alu instid0(VALU_DEP_1) | instskip(NEXT) | instid1(VALU_DEP_1)
	v_fma_f64 v[182:183], v[96:97], v[182:183], s[20:21]
	;; [unrolled: 3-line block ×4, first 2 shown]
	v_fma_f64 v[182:183], v[96:97], v[182:183], s[30:31]
	s_delay_alu instid0(VALU_DEP_1) | instskip(NEXT) | instid1(VALU_DEP_1)
	v_fma_f64 v[182:183], v[96:97], v[182:183], 1.0
	v_fma_f64 v[96:97], v[96:97], v[182:183], 1.0
	s_delay_alu instid0(VALU_DEP_1) | instskip(NEXT) | instid1(VALU_DEP_1)
	v_ldexp_f64 v[94:95], v[96:97], v18
	v_fma_f64 v[66:67], v[94:95], v[66:67], 1.0
	s_wait_alu 0xfffd
	s_delay_alu instid0(VALU_DEP_1) | instskip(SKIP_2) | instid1(VALU_DEP_2)
	v_cndmask_b32_e32 v18, 0x7ff00000, v67, vcc_lo
	s_and_b32 vcc_lo, s0, vcc_lo
	s_wait_alu 0xfffe
	v_cndmask_b32_e32 v66, 0, v66, vcc_lo
	s_delay_alu instid0(VALU_DEP_2) | instskip(SKIP_2) | instid1(VALU_DEP_1)
	v_cndmask_b32_e64 v67, 0x3ff00000, v18, s0
	s_mov_b32 s0, 0xe2308c3a
	s_mov_b32 s1, 0x3e45798e
	v_div_scale_f64 v[70:71], null, v[66:67], v[66:67], v[88:89]
	s_delay_alu instid0(VALU_DEP_1) | instskip(NEXT) | instid1(TRANS32_DEP_1)
	v_rcp_f64_e32 v[94:95], v[70:71]
	v_fma_f64 v[96:97], -v[70:71], v[94:95], 1.0
	s_delay_alu instid0(VALU_DEP_1) | instskip(NEXT) | instid1(VALU_DEP_1)
	v_fma_f64 v[94:95], v[94:95], v[96:97], v[94:95]
	v_fma_f64 v[96:97], -v[70:71], v[94:95], 1.0
	s_delay_alu instid0(VALU_DEP_1) | instskip(SKIP_1) | instid1(VALU_DEP_1)
	v_fma_f64 v[94:95], v[94:95], v[96:97], v[94:95]
	v_div_scale_f64 v[96:97], vcc_lo, v[88:89], v[66:67], v[88:89]
	v_mul_f64_e32 v[182:183], v[96:97], v[94:95]
	s_delay_alu instid0(VALU_DEP_1) | instskip(SKIP_1) | instid1(VALU_DEP_1)
	v_fma_f64 v[70:71], -v[70:71], v[182:183], v[96:97]
	s_wait_alu 0xfffd
	v_div_fmas_f64 v[70:71], v[70:71], v[94:95], v[182:183]
	s_delay_alu instid0(VALU_DEP_1) | instskip(NEXT) | instid1(VALU_DEP_1)
	v_div_fixup_f64 v[66:67], v[70:71], v[66:67], v[88:89]
	v_add_f64_e32 v[64:65], v[64:65], v[66:67]
	s_delay_alu instid0(VALU_DEP_1) | instskip(NEXT) | instid1(VALU_DEP_1)
	v_div_scale_f64 v[66:67], null, v[64:65], v[64:65], 1.0
	v_rcp_f64_e32 v[70:71], v[66:67]
	s_delay_alu instid0(TRANS32_DEP_1) | instskip(NEXT) | instid1(VALU_DEP_1)
	v_fma_f64 v[88:89], -v[66:67], v[70:71], 1.0
	v_fma_f64 v[70:71], v[70:71], v[88:89], v[70:71]
	s_delay_alu instid0(VALU_DEP_1) | instskip(NEXT) | instid1(VALU_DEP_1)
	v_fma_f64 v[88:89], -v[66:67], v[70:71], 1.0
	v_fma_f64 v[70:71], v[70:71], v[88:89], v[70:71]
	v_div_scale_f64 v[88:89], vcc_lo, 1.0, v[64:65], 1.0
	s_delay_alu instid0(VALU_DEP_1) | instskip(NEXT) | instid1(VALU_DEP_1)
	v_mul_f64_e32 v[94:95], v[88:89], v[70:71]
	v_fma_f64 v[66:67], -v[66:67], v[94:95], v[88:89]
	s_wait_alu 0xfffd
	s_delay_alu instid0(VALU_DEP_1) | instskip(NEXT) | instid1(VALU_DEP_1)
	v_div_fmas_f64 v[66:67], v[66:67], v[70:71], v[94:95]
	v_div_fixup_f64 v[66:67], v[66:67], v[64:65], 1.0
	v_add_f64_e64 v[64:65], v[184:185], -v[20:21]
	s_delay_alu instid0(VALU_DEP_1) | instskip(NEXT) | instid1(VALU_DEP_1)
	v_div_scale_f64 v[70:71], null, v[66:67], v[66:67], v[64:65]
	v_rcp_f64_e32 v[88:89], v[70:71]
	s_delay_alu instid0(TRANS32_DEP_1) | instskip(NEXT) | instid1(VALU_DEP_1)
	v_fma_f64 v[94:95], -v[70:71], v[88:89], 1.0
	v_fma_f64 v[88:89], v[88:89], v[94:95], v[88:89]
	s_delay_alu instid0(VALU_DEP_1) | instskip(NEXT) | instid1(VALU_DEP_1)
	v_fma_f64 v[94:95], -v[70:71], v[88:89], 1.0
	v_fma_f64 v[88:89], v[88:89], v[94:95], v[88:89]
	v_div_scale_f64 v[94:95], vcc_lo, v[64:65], v[66:67], v[64:65]
	s_delay_alu instid0(VALU_DEP_1) | instskip(NEXT) | instid1(VALU_DEP_1)
	v_mul_f64_e32 v[96:97], v[94:95], v[88:89]
	v_fma_f64 v[70:71], -v[70:71], v[96:97], v[94:95]
	s_wait_alu 0xfffd
	s_delay_alu instid0(VALU_DEP_1) | instskip(NEXT) | instid1(VALU_DEP_1)
	v_div_fmas_f64 v[70:71], v[70:71], v[88:89], v[96:97]
	v_div_fixup_f64 v[64:65], v[70:71], v[66:67], v[64:65]
	v_div_scale_f64 v[70:71], null, v[66:67], v[66:67], -1.0
	s_delay_alu instid0(VALU_DEP_1) | instskip(NEXT) | instid1(TRANS32_DEP_1)
	v_rcp_f64_e32 v[88:89], v[70:71]
	v_fma_f64 v[94:95], -v[70:71], v[88:89], 1.0
	s_delay_alu instid0(VALU_DEP_1) | instskip(NEXT) | instid1(VALU_DEP_1)
	v_fma_f64 v[88:89], v[88:89], v[94:95], v[88:89]
	v_fma_f64 v[94:95], -v[70:71], v[88:89], 1.0
	s_delay_alu instid0(VALU_DEP_1) | instskip(SKIP_1) | instid1(VALU_DEP_1)
	v_fma_f64 v[88:89], v[88:89], v[94:95], v[88:89]
	v_div_scale_f64 v[94:95], vcc_lo, -1.0, v[66:67], -1.0
	v_mul_f64_e32 v[96:97], v[94:95], v[88:89]
	s_delay_alu instid0(VALU_DEP_1) | instskip(SKIP_1) | instid1(VALU_DEP_1)
	v_fma_f64 v[70:71], -v[70:71], v[96:97], v[94:95]
	s_wait_alu 0xfffd
	v_div_fmas_f64 v[70:71], v[70:71], v[88:89], v[96:97]
	s_delay_alu instid0(VALU_DEP_1) | instskip(SKIP_1) | instid1(VALU_DEP_1)
	v_div_fixup_f64 v[66:67], v[70:71], v[66:67], -1.0
                                        ; implicit-def: $vgpr70_vgpr71
	s_wait_alu 0xfffe
	v_cmp_ngt_f64_e64 s0, |v[66:67]|, s[0:1]
	s_and_saveexec_b32 s1, s0
	s_wait_alu 0xfffe
	s_xor_b32 s0, exec_lo, s1
	s_cbranch_execz .LBB0_31
; %bb.30:
	v_mul_f64_e32 v[70:71], s[12:13], v[64:65]
                                        ; implicit-def: $vgpr66_vgpr67
                                        ; implicit-def: $vgpr64_vgpr65
.LBB0_31:
	s_wait_alu 0xfffe
	s_and_not1_saveexec_b32 s1, s0
	s_cbranch_execz .LBB0_33
; %bb.32:
	v_mul_f64_e32 v[70:71], s[12:13], v[66:67]
	s_mov_b32 s2, 0x652b82fe
	s_mov_b32 s3, 0x3ff71547
	s_wait_alu 0xfffe
	s_delay_alu instid0(VALU_DEP_1) | instskip(SKIP_4) | instid1(VALU_DEP_3)
	v_mul_f64_e32 v[88:89], s[2:3], v[70:71]
	s_mov_b32 s2, 0xfefa39ef
	s_mov_b32 s3, 0xbfe62e42
	v_cmp_nlt_f64_e32 vcc_lo, 0x40900000, v[70:71]
	v_cmp_ngt_f64_e64 s0, 0xc090cc00, v[70:71]
	v_rndne_f64_e32 v[88:89], v[88:89]
	s_wait_alu 0xfffe
	s_delay_alu instid0(VALU_DEP_1) | instskip(SKIP_4) | instid1(VALU_DEP_2)
	v_fma_f64 v[94:95], v[88:89], s[2:3], v[70:71]
	s_mov_b32 s2, 0x3b39803f
	s_mov_b32 s3, 0xbc7abc9e
	v_cvt_i32_f64_e32 v18, v[88:89]
	s_wait_alu 0xfffe
	v_fma_f64 v[94:95], v[88:89], s[2:3], v[94:95]
	s_mov_b32 s2, 0xfca7ab0c
	s_mov_b32 s3, 0x3e928af3
	s_wait_alu 0xfffe
	s_delay_alu instid0(VALU_DEP_1) | instskip(SKIP_3) | instid1(VALU_DEP_1)
	v_fma_f64 v[96:97], v[94:95], s[4:5], s[2:3]
	s_mov_b32 s2, 0x623fde64
	s_mov_b32 s3, 0x3ec71dee
	s_wait_alu 0xfffe
	v_fma_f64 v[96:97], v[94:95], v[96:97], s[2:3]
	s_mov_b32 s2, 0x7c89e6b0
	s_mov_b32 s3, 0x3efa0199
	s_wait_alu 0xfffe
	s_delay_alu instid0(VALU_DEP_1) | instskip(SKIP_3) | instid1(VALU_DEP_1)
	v_fma_f64 v[96:97], v[94:95], v[96:97], s[2:3]
	s_mov_b32 s2, 0x14761f6e
	s_mov_b32 s3, 0x3f2a01a0
	;; [unrolled: 9-line block ×4, first 2 shown]
	s_wait_alu 0xfffe
	v_fma_f64 v[96:97], v[94:95], v[96:97], s[2:3]
	s_mov_b32 s2, 11
	s_mov_b32 s3, 0x3fe00000
	s_wait_alu 0xfffe
	s_delay_alu instid0(VALU_DEP_1) | instskip(NEXT) | instid1(VALU_DEP_1)
	v_fma_f64 v[96:97], v[94:95], v[96:97], s[2:3]
	v_fma_f64 v[96:97], v[94:95], v[96:97], 1.0
	s_delay_alu instid0(VALU_DEP_1) | instskip(NEXT) | instid1(VALU_DEP_1)
	v_fma_f64 v[88:89], v[94:95], v[96:97], 1.0
	v_ldexp_f64 v[88:89], v[88:89], v18
	s_delay_alu instid0(VALU_DEP_1) | instskip(SKIP_1) | instid1(VALU_DEP_1)
	v_add_f64_e32 v[88:89], -1.0, v[88:89]
	s_wait_alu 0xfffd
	v_cndmask_b32_e32 v18, 0x7ff00000, v89, vcc_lo
	s_and_b32 vcc_lo, s0, vcc_lo
	s_wait_alu 0xfffe
	s_delay_alu instid0(VALU_DEP_2) | instskip(NEXT) | instid1(VALU_DEP_2)
	v_cndmask_b32_e32 v70, 0, v88, vcc_lo
	v_cndmask_b32_e64 v71, 0xbff00000, v18, s0
	s_delay_alu instid0(VALU_DEP_1) | instskip(NEXT) | instid1(VALU_DEP_1)
	v_mul_f64_e32 v[64:65], v[64:65], v[70:71]
	v_div_scale_f64 v[70:71], null, v[66:67], v[66:67], v[64:65]
	s_delay_alu instid0(VALU_DEP_1) | instskip(NEXT) | instid1(TRANS32_DEP_1)
	v_rcp_f64_e32 v[88:89], v[70:71]
	v_fma_f64 v[94:95], -v[70:71], v[88:89], 1.0
	s_delay_alu instid0(VALU_DEP_1) | instskip(NEXT) | instid1(VALU_DEP_1)
	v_fma_f64 v[88:89], v[88:89], v[94:95], v[88:89]
	v_fma_f64 v[94:95], -v[70:71], v[88:89], 1.0
	s_delay_alu instid0(VALU_DEP_1) | instskip(SKIP_1) | instid1(VALU_DEP_1)
	v_fma_f64 v[88:89], v[88:89], v[94:95], v[88:89]
	v_div_scale_f64 v[94:95], vcc_lo, v[64:65], v[66:67], v[64:65]
	v_mul_f64_e32 v[96:97], v[94:95], v[88:89]
	s_delay_alu instid0(VALU_DEP_1) | instskip(SKIP_1) | instid1(VALU_DEP_1)
	v_fma_f64 v[70:71], -v[70:71], v[96:97], v[94:95]
	s_wait_alu 0xfffd
	v_div_fmas_f64 v[70:71], v[70:71], v[88:89], v[96:97]
	s_delay_alu instid0(VALU_DEP_1)
	v_div_fixup_f64 v[70:71], v[70:71], v[66:67], v[64:65]
.LBB0_33:
	s_wait_alu 0xfffe
	s_or_b32 exec_lo, exec_lo, s1
	s_delay_alu instid0(VALU_DEP_1)
	v_add_f64_e32 v[64:65], v[20:21], v[70:71]
	s_mov_b32 s0, 0x11111105
	s_mov_b32 s1, 0xbfc11111
	;; [unrolled: 1-line block ×12, first 2 shown]
	global_store_b64 v[178:179], v[64:65], off
	s_wait_alu 0xfffe
	v_mul_f64_e32 v[64:65], s[0:1], v[2:3]
	s_mov_b32 s0, 0x9ad86a7a
	s_mov_b32 s1, 0x3fd6069d
	s_delay_alu instid0(VALU_DEP_1) | instskip(NEXT) | instid1(VALU_DEP_1)
	v_mul_f64_e32 v[66:67], s[2:3], v[64:65]
	v_rndne_f64_e32 v[66:67], v[66:67]
	s_delay_alu instid0(VALU_DEP_1) | instskip(SKIP_1) | instid1(VALU_DEP_2)
	v_fma_f64 v[70:71], v[66:67], s[4:5], v[64:65]
	v_cvt_i32_f64_e32 v18, v[66:67]
	v_fma_f64 v[70:71], v[66:67], s[6:7], v[70:71]
	s_delay_alu instid0(VALU_DEP_1) | instskip(NEXT) | instid1(VALU_DEP_1)
	v_fma_f64 v[88:89], v[70:71], s[14:15], s[8:9]
	v_fma_f64 v[88:89], v[70:71], v[88:89], s[16:17]
	s_delay_alu instid0(VALU_DEP_1) | instskip(NEXT) | instid1(VALU_DEP_1)
	v_fma_f64 v[88:89], v[70:71], v[88:89], s[18:19]
	;; [unrolled: 3-line block ×5, first 2 shown]
	v_fma_f64 v[88:89], v[70:71], v[88:89], 1.0
	s_delay_alu instid0(VALU_DEP_1) | instskip(NEXT) | instid1(VALU_DEP_1)
	v_fma_f64 v[70:71], v[70:71], v[88:89], 1.0
	v_ldexp_f64 v[66:67], v[70:71], v18
	s_wait_alu 0xfffe
	s_delay_alu instid0(VALU_DEP_1) | instskip(SKIP_1) | instid1(VALU_DEP_2)
	v_fma_f64 v[66:67], v[66:67], s[0:1], 1.0
	v_cmp_ngt_f64_e64 s0, 0xc090cc00, v[64:65]
	v_div_scale_f64 v[70:71], null, v[66:67], v[66:67], 1.0
	s_delay_alu instid0(VALU_DEP_1) | instskip(NEXT) | instid1(TRANS32_DEP_1)
	v_rcp_f64_e32 v[88:89], v[70:71]
	v_fma_f64 v[94:95], -v[70:71], v[88:89], 1.0
	s_delay_alu instid0(VALU_DEP_1) | instskip(NEXT) | instid1(VALU_DEP_1)
	v_fma_f64 v[88:89], v[88:89], v[94:95], v[88:89]
	v_fma_f64 v[94:95], -v[70:71], v[88:89], 1.0
	s_delay_alu instid0(VALU_DEP_1) | instskip(SKIP_1) | instid1(VALU_DEP_1)
	v_fma_f64 v[88:89], v[88:89], v[94:95], v[88:89]
	v_div_scale_f64 v[94:95], vcc_lo, 1.0, v[66:67], 1.0
	v_mul_f64_e32 v[96:97], v[94:95], v[88:89]
	s_delay_alu instid0(VALU_DEP_1) | instskip(SKIP_1) | instid1(VALU_DEP_1)
	v_fma_f64 v[70:71], -v[70:71], v[96:97], v[94:95]
	s_wait_alu 0xfffd
	v_div_fmas_f64 v[70:71], v[70:71], v[88:89], v[96:97]
	v_cmp_nlt_f64_e32 vcc_lo, 0x40900000, v[64:65]
	s_delay_alu instid0(VALU_DEP_2) | instskip(SKIP_1) | instid1(VALU_DEP_1)
	v_div_fixup_f64 v[66:67], v[70:71], v[66:67], 1.0
	s_wait_alu 0xfffd
	v_cndmask_b32_e32 v18, 0, v67, vcc_lo
	s_and_b32 vcc_lo, s0, vcc_lo
	s_wait_alu 0xfffe
	s_delay_alu instid0(VALU_DEP_2) | instskip(SKIP_4) | instid1(VALU_DEP_1)
	v_cndmask_b32_e32 v64, 0, v66, vcc_lo
	v_div_scale_f64 v[66:67], null, 0xc02a0000, 0xc02a0000, v[2:3]
	v_cndmask_b32_e64 v65, 0x3ff00000, v18, s0
	s_mov_b32 s0, 0x9d89d89e
	s_mov_b32 s1, 0xc00589d8
	v_add_f64_e64 v[64:65], v[64:65], -v[48:49]
	s_delay_alu instid0(VALU_DEP_3) | instskip(NEXT) | instid1(TRANS32_DEP_1)
	v_rcp_f64_e32 v[70:71], v[66:67]
	v_fma_f64 v[88:89], -v[66:67], v[70:71], 1.0
	s_delay_alu instid0(VALU_DEP_1) | instskip(NEXT) | instid1(VALU_DEP_1)
	v_fma_f64 v[70:71], v[70:71], v[88:89], v[70:71]
	v_fma_f64 v[88:89], -v[66:67], v[70:71], 1.0
	s_delay_alu instid0(VALU_DEP_1) | instskip(SKIP_1) | instid1(VALU_DEP_1)
	v_fma_f64 v[70:71], v[70:71], v[88:89], v[70:71]
	v_div_scale_f64 v[88:89], vcc_lo, v[2:3], 0xc02a0000, v[2:3]
	v_mul_f64_e32 v[94:95], v[88:89], v[70:71]
	s_delay_alu instid0(VALU_DEP_1) | instskip(SKIP_1) | instid1(VALU_DEP_1)
	v_fma_f64 v[66:67], -v[66:67], v[94:95], v[88:89]
	s_wait_alu 0xfffd
	v_div_fmas_f64 v[66:67], v[66:67], v[70:71], v[94:95]
	s_delay_alu instid0(VALU_DEP_1) | instskip(SKIP_1) | instid1(VALU_DEP_1)
	v_div_fixup_f64 v[66:67], v[66:67], 0xc02a0000, v[2:3]
	s_wait_alu 0xfffe
	v_add_f64_e32 v[66:67], s[0:1], v[66:67]
	s_mov_b32 s0, 0x66666666
	s_mov_b32 s1, 0x3ff66666
	s_delay_alu instid0(VALU_DEP_1) | instskip(NEXT) | instid1(VALU_DEP_1)
	v_mul_f64_e32 v[70:71], s[2:3], v[66:67]
	v_rndne_f64_e32 v[70:71], v[70:71]
	s_delay_alu instid0(VALU_DEP_1) | instskip(SKIP_1) | instid1(VALU_DEP_2)
	v_fma_f64 v[88:89], v[70:71], s[4:5], v[66:67]
	v_cvt_i32_f64_e32 v18, v[70:71]
	v_fma_f64 v[88:89], v[70:71], s[6:7], v[88:89]
	s_delay_alu instid0(VALU_DEP_1) | instskip(NEXT) | instid1(VALU_DEP_1)
	v_fma_f64 v[94:95], v[88:89], s[14:15], s[8:9]
	v_fma_f64 v[94:95], v[88:89], v[94:95], s[16:17]
	s_delay_alu instid0(VALU_DEP_1) | instskip(NEXT) | instid1(VALU_DEP_1)
	v_fma_f64 v[94:95], v[88:89], v[94:95], s[18:19]
	;; [unrolled: 3-line block ×5, first 2 shown]
	v_fma_f64 v[94:95], v[88:89], v[94:95], 1.0
	s_delay_alu instid0(VALU_DEP_1) | instskip(NEXT) | instid1(VALU_DEP_1)
	v_fma_f64 v[88:89], v[88:89], v[94:95], 1.0
	v_ldexp_f64 v[70:71], v[88:89], v18
	s_delay_alu instid0(VALU_DEP_1) | instskip(SKIP_1) | instid1(VALU_DEP_1)
	v_add_f64_e32 v[70:71], 1.0, v[70:71]
	s_wait_alu 0xfffe
	v_div_scale_f64 v[88:89], null, v[70:71], v[70:71], s[0:1]
	s_delay_alu instid0(VALU_DEP_1) | instskip(NEXT) | instid1(TRANS32_DEP_1)
	v_rcp_f64_e32 v[94:95], v[88:89]
	v_fma_f64 v[96:97], -v[88:89], v[94:95], 1.0
	s_delay_alu instid0(VALU_DEP_1) | instskip(NEXT) | instid1(VALU_DEP_1)
	v_fma_f64 v[94:95], v[94:95], v[96:97], v[94:95]
	v_fma_f64 v[96:97], -v[88:89], v[94:95], 1.0
	s_delay_alu instid0(VALU_DEP_1) | instskip(SKIP_1) | instid1(VALU_DEP_1)
	v_fma_f64 v[94:95], v[94:95], v[96:97], v[94:95]
	v_div_scale_f64 v[96:97], vcc_lo, s[0:1], v[70:71], s[0:1]
	v_mul_f64_e32 v[178:179], v[96:97], v[94:95]
	s_delay_alu instid0(VALU_DEP_1) | instskip(SKIP_1) | instid1(VALU_DEP_1)
	v_fma_f64 v[88:89], -v[88:89], v[178:179], v[96:97]
	s_wait_alu 0xfffd
	v_div_fmas_f64 v[88:89], v[88:89], v[94:95], v[178:179]
	v_cmp_nlt_f64_e32 vcc_lo, 0x40900000, v[66:67]
	s_delay_alu instid0(VALU_DEP_2) | instskip(NEXT) | instid1(VALU_DEP_1)
	v_div_fixup_f64 v[70:71], v[88:89], v[70:71], s[0:1]
	v_add_f64_e32 v[70:71], 0x3fd00000, v[70:71]
	s_wait_alu 0xfffd
	s_delay_alu instid0(VALU_DEP_1) | instskip(NEXT) | instid1(VALU_DEP_2)
	v_cndmask_b32_e32 v18, 0, v70, vcc_lo
	v_cndmask_b32_e32 v19, 0x3fd00000, v71, vcc_lo
	v_add_f64_e32 v[70:71], 1.0, v[174:175]
	v_cmp_ngt_f64_e32 vcc_lo, 0xc090cc00, v[66:67]
	s_delay_alu instid0(VALU_DEP_2) | instskip(SKIP_3) | instid1(VALU_DEP_3)
	v_mul_f64_e32 v[88:89], s[2:3], v[70:71]
	s_wait_alu 0xfffd
	v_cndmask_b32_e32 v66, 0x66666666, v18, vcc_lo
	v_cndmask_b32_e32 v67, 0x3ffa6666, v19, vcc_lo
	v_rndne_f64_e32 v[88:89], v[88:89]
	s_delay_alu instid0(VALU_DEP_1) | instskip(SKIP_1) | instid1(VALU_DEP_2)
	v_fma_f64 v[94:95], v[88:89], s[4:5], v[70:71]
	v_cvt_i32_f64_e32 v18, v[88:89]
	v_fma_f64 v[94:95], v[88:89], s[6:7], v[94:95]
	s_delay_alu instid0(VALU_DEP_1) | instskip(NEXT) | instid1(VALU_DEP_1)
	v_fma_f64 v[96:97], v[94:95], s[14:15], s[8:9]
	v_fma_f64 v[96:97], v[94:95], v[96:97], s[16:17]
	s_delay_alu instid0(VALU_DEP_1) | instskip(NEXT) | instid1(VALU_DEP_1)
	v_fma_f64 v[96:97], v[94:95], v[96:97], s[18:19]
	;; [unrolled: 3-line block ×5, first 2 shown]
	v_fma_f64 v[96:97], v[94:95], v[96:97], 1.0
	s_delay_alu instid0(VALU_DEP_1) | instskip(NEXT) | instid1(VALU_DEP_1)
	v_fma_f64 v[94:95], v[94:95], v[96:97], 1.0
	v_ldexp_f64 v[88:89], v[94:95], v18
	s_delay_alu instid0(VALU_DEP_1) | instskip(NEXT) | instid1(VALU_DEP_1)
	v_add_f64_e32 v[88:89], 1.0, v[88:89]
	v_div_scale_f64 v[94:95], null, v[88:89], v[88:89], s[0:1]
	s_delay_alu instid0(VALU_DEP_1) | instskip(NEXT) | instid1(TRANS32_DEP_1)
	v_rcp_f64_e32 v[96:97], v[94:95]
	v_fma_f64 v[178:179], -v[94:95], v[96:97], 1.0
	s_delay_alu instid0(VALU_DEP_1) | instskip(NEXT) | instid1(VALU_DEP_1)
	v_fma_f64 v[96:97], v[96:97], v[178:179], v[96:97]
	v_fma_f64 v[178:179], -v[94:95], v[96:97], 1.0
	s_delay_alu instid0(VALU_DEP_1) | instskip(SKIP_1) | instid1(VALU_DEP_1)
	v_fma_f64 v[96:97], v[96:97], v[178:179], v[96:97]
	v_div_scale_f64 v[178:179], vcc_lo, s[0:1], v[88:89], s[0:1]
	v_mul_f64_e32 v[182:183], v[178:179], v[96:97]
	s_delay_alu instid0(VALU_DEP_1) | instskip(SKIP_1) | instid1(VALU_DEP_1)
	v_fma_f64 v[94:95], -v[94:95], v[182:183], v[178:179]
	s_wait_alu 0xfffd
	v_div_fmas_f64 v[94:95], v[94:95], v[96:97], v[182:183]
	v_cmp_nlt_f64_e32 vcc_lo, 0x40900000, v[70:71]
	s_delay_alu instid0(VALU_DEP_2) | instskip(SKIP_1) | instid1(VALU_DEP_1)
	v_div_fixup_f64 v[88:89], v[94:95], v[88:89], s[0:1]
	s_wait_alu 0xfffd
	v_dual_cndmask_b32 v18, 0, v88 :: v_dual_cndmask_b32 v19, 0, v89
	v_add_f64_e64 v[88:89], 0x40040000, -v[180:181]
	v_cmp_ngt_f64_e32 vcc_lo, 0xc090cc00, v[70:71]
	s_delay_alu instid0(VALU_DEP_2) | instskip(SKIP_4) | instid1(VALU_DEP_4)
	v_mul_f64_e32 v[94:95], s[2:3], v[88:89]
	s_wait_alu 0xfffd
	v_cndmask_b32_e32 v70, 0x66666666, v18, vcc_lo
	v_cndmask_b32_e32 v71, 0x3ff66666, v19, vcc_lo
	v_cmp_ngt_f64_e64 s0, 0xc090cc00, v[88:89]
	v_rndne_f64_e32 v[94:95], v[94:95]
	s_delay_alu instid0(VALU_DEP_1) | instskip(SKIP_1) | instid1(VALU_DEP_2)
	v_fma_f64 v[96:97], v[94:95], s[4:5], v[88:89]
	v_cvt_i32_f64_e32 v18, v[94:95]
	v_fma_f64 v[96:97], v[94:95], s[6:7], v[96:97]
	s_delay_alu instid0(VALU_DEP_1) | instskip(NEXT) | instid1(VALU_DEP_1)
	v_fma_f64 v[178:179], v[96:97], s[14:15], s[8:9]
	v_fma_f64 v[178:179], v[96:97], v[178:179], s[16:17]
	s_delay_alu instid0(VALU_DEP_1) | instskip(NEXT) | instid1(VALU_DEP_1)
	v_fma_f64 v[178:179], v[96:97], v[178:179], s[18:19]
	;; [unrolled: 3-line block ×5, first 2 shown]
	v_fma_f64 v[178:179], v[96:97], v[178:179], 1.0
	s_delay_alu instid0(VALU_DEP_1) | instskip(NEXT) | instid1(VALU_DEP_1)
	v_fma_f64 v[96:97], v[96:97], v[178:179], 1.0
	v_ldexp_f64 v[94:95], v[96:97], v18
	s_delay_alu instid0(VALU_DEP_1) | instskip(NEXT) | instid1(VALU_DEP_1)
	v_add_f64_e32 v[94:95], 1.0, v[94:95]
	v_div_scale_f64 v[96:97], null, v[94:95], v[94:95], 1.0
	s_delay_alu instid0(VALU_DEP_1) | instskip(NEXT) | instid1(TRANS32_DEP_1)
	v_rcp_f64_e32 v[178:179], v[96:97]
	v_fma_f64 v[180:181], -v[96:97], v[178:179], 1.0
	s_delay_alu instid0(VALU_DEP_1) | instskip(NEXT) | instid1(VALU_DEP_1)
	v_fma_f64 v[178:179], v[178:179], v[180:181], v[178:179]
	v_fma_f64 v[180:181], -v[96:97], v[178:179], 1.0
	s_delay_alu instid0(VALU_DEP_1) | instskip(SKIP_1) | instid1(VALU_DEP_1)
	v_fma_f64 v[178:179], v[178:179], v[180:181], v[178:179]
	v_div_scale_f64 v[180:181], vcc_lo, 1.0, v[94:95], 1.0
	v_mul_f64_e32 v[182:183], v[180:181], v[178:179]
	s_delay_alu instid0(VALU_DEP_1) | instskip(SKIP_1) | instid1(VALU_DEP_1)
	v_fma_f64 v[96:97], -v[96:97], v[182:183], v[180:181]
	s_wait_alu 0xfffd
	v_div_fmas_f64 v[96:97], v[96:97], v[178:179], v[182:183]
	v_cmp_nlt_f64_e32 vcc_lo, 0x40900000, v[88:89]
	s_delay_alu instid0(VALU_DEP_2) | instskip(SKIP_1) | instid1(VALU_DEP_1)
	v_div_fixup_f64 v[94:95], v[96:97], v[94:95], 1.0
	s_wait_alu 0xfffd
	v_cndmask_b32_e32 v18, 0, v95, vcc_lo
	s_and_b32 vcc_lo, s0, vcc_lo
	s_wait_alu 0xfffe
	s_delay_alu instid0(VALU_DEP_2) | instskip(NEXT) | instid1(VALU_DEP_2)
	v_cndmask_b32_e32 v88, 0, v94, vcc_lo
	v_cndmask_b32_e64 v89, 0x3ff00000, v18, s0
	s_mov_b32 s0, 0xe2308c3a
	s_mov_b32 s1, 0x3e45798e
	s_delay_alu instid0(VALU_DEP_1) | instskip(NEXT) | instid1(VALU_DEP_1)
	v_fma_f64 v[66:67], v[70:71], v[66:67], v[88:89]
	v_div_scale_f64 v[70:71], null, v[66:67], v[66:67], v[64:65]
	s_delay_alu instid0(VALU_DEP_1) | instskip(NEXT) | instid1(TRANS32_DEP_1)
	v_rcp_f64_e32 v[88:89], v[70:71]
	v_fma_f64 v[94:95], -v[70:71], v[88:89], 1.0
	s_delay_alu instid0(VALU_DEP_1) | instskip(NEXT) | instid1(VALU_DEP_1)
	v_fma_f64 v[88:89], v[88:89], v[94:95], v[88:89]
	v_fma_f64 v[94:95], -v[70:71], v[88:89], 1.0
	s_delay_alu instid0(VALU_DEP_1) | instskip(SKIP_1) | instid1(VALU_DEP_1)
	v_fma_f64 v[88:89], v[88:89], v[94:95], v[88:89]
	v_div_scale_f64 v[94:95], vcc_lo, v[64:65], v[66:67], v[64:65]
	v_mul_f64_e32 v[96:97], v[94:95], v[88:89]
	s_delay_alu instid0(VALU_DEP_1) | instskip(SKIP_1) | instid1(VALU_DEP_1)
	v_fma_f64 v[70:71], -v[70:71], v[96:97], v[94:95]
	s_wait_alu 0xfffd
	v_div_fmas_f64 v[70:71], v[70:71], v[88:89], v[96:97]
	s_delay_alu instid0(VALU_DEP_1) | instskip(SKIP_1) | instid1(VALU_DEP_1)
	v_div_fixup_f64 v[64:65], v[70:71], v[66:67], v[64:65]
	v_div_scale_f64 v[70:71], null, v[66:67], v[66:67], -1.0
	v_rcp_f64_e32 v[88:89], v[70:71]
	s_delay_alu instid0(TRANS32_DEP_1) | instskip(NEXT) | instid1(VALU_DEP_1)
	v_fma_f64 v[94:95], -v[70:71], v[88:89], 1.0
	v_fma_f64 v[88:89], v[88:89], v[94:95], v[88:89]
	s_delay_alu instid0(VALU_DEP_1) | instskip(NEXT) | instid1(VALU_DEP_1)
	v_fma_f64 v[94:95], -v[70:71], v[88:89], 1.0
	v_fma_f64 v[88:89], v[88:89], v[94:95], v[88:89]
	v_div_scale_f64 v[94:95], vcc_lo, -1.0, v[66:67], -1.0
	s_delay_alu instid0(VALU_DEP_1) | instskip(NEXT) | instid1(VALU_DEP_1)
	v_mul_f64_e32 v[96:97], v[94:95], v[88:89]
	v_fma_f64 v[70:71], -v[70:71], v[96:97], v[94:95]
	s_wait_alu 0xfffd
	s_delay_alu instid0(VALU_DEP_1) | instskip(NEXT) | instid1(VALU_DEP_1)
	v_div_fmas_f64 v[70:71], v[70:71], v[88:89], v[96:97]
	v_div_fixup_f64 v[66:67], v[70:71], v[66:67], -1.0
                                        ; implicit-def: $vgpr70_vgpr71
	s_wait_alu 0xfffe
	s_delay_alu instid0(VALU_DEP_1)
	v_cmp_ngt_f64_e64 s0, |v[66:67]|, s[0:1]
	s_and_saveexec_b32 s1, s0
	s_wait_alu 0xfffe
	s_xor_b32 s0, exec_lo, s1
	s_cbranch_execz .LBB0_35
; %bb.34:
	v_mul_f64_e32 v[70:71], s[12:13], v[64:65]
                                        ; implicit-def: $vgpr66_vgpr67
                                        ; implicit-def: $vgpr64_vgpr65
.LBB0_35:
	s_wait_alu 0xfffe
	s_and_not1_saveexec_b32 s1, s0
	s_cbranch_execz .LBB0_37
; %bb.36:
	v_mul_f64_e32 v[70:71], s[12:13], v[66:67]
	s_mov_b32 s4, 0x6a5dcb37
	s_mov_b32 s5, 0x3e5ade15
	s_delay_alu instid0(VALU_DEP_1) | instskip(SKIP_4) | instid1(VALU_DEP_3)
	v_mul_f64_e32 v[88:89], s[2:3], v[70:71]
	s_mov_b32 s2, 0xfefa39ef
	s_mov_b32 s3, 0xbfe62e42
	v_cmp_nlt_f64_e32 vcc_lo, 0x40900000, v[70:71]
	v_cmp_ngt_f64_e64 s0, 0xc090cc00, v[70:71]
	v_rndne_f64_e32 v[88:89], v[88:89]
	s_wait_alu 0xfffe
	s_delay_alu instid0(VALU_DEP_1) | instskip(SKIP_4) | instid1(VALU_DEP_2)
	v_fma_f64 v[94:95], v[88:89], s[2:3], v[70:71]
	s_mov_b32 s2, 0x3b39803f
	s_mov_b32 s3, 0xbc7abc9e
	v_cvt_i32_f64_e32 v18, v[88:89]
	s_wait_alu 0xfffe
	v_fma_f64 v[94:95], v[88:89], s[2:3], v[94:95]
	s_mov_b32 s2, 0xfca7ab0c
	s_mov_b32 s3, 0x3e928af3
	s_wait_alu 0xfffe
	s_delay_alu instid0(VALU_DEP_1) | instskip(SKIP_3) | instid1(VALU_DEP_1)
	v_fma_f64 v[96:97], v[94:95], s[4:5], s[2:3]
	s_mov_b32 s2, 0x623fde64
	s_mov_b32 s3, 0x3ec71dee
	s_wait_alu 0xfffe
	v_fma_f64 v[96:97], v[94:95], v[96:97], s[2:3]
	s_mov_b32 s2, 0x7c89e6b0
	s_mov_b32 s3, 0x3efa0199
	s_wait_alu 0xfffe
	s_delay_alu instid0(VALU_DEP_1) | instskip(SKIP_3) | instid1(VALU_DEP_1)
	v_fma_f64 v[96:97], v[94:95], v[96:97], s[2:3]
	s_mov_b32 s2, 0x14761f6e
	s_mov_b32 s3, 0x3f2a01a0
	s_wait_alu 0xfffe
	v_fma_f64 v[96:97], v[94:95], v[96:97], s[2:3]
	s_mov_b32 s2, 0x1852b7b0
	s_mov_b32 s3, 0x3f56c16c
	s_wait_alu 0xfffe
	s_delay_alu instid0(VALU_DEP_1) | instskip(SKIP_3) | instid1(VALU_DEP_1)
	v_fma_f64 v[96:97], v[94:95], v[96:97], s[2:3]
	s_mov_b32 s2, 0x11122322
	s_mov_b32 s3, 0x3f811111
	s_wait_alu 0xfffe
	v_fma_f64 v[96:97], v[94:95], v[96:97], s[2:3]
	s_mov_b32 s2, 0x555502a1
	s_mov_b32 s3, 0x3fa55555
	s_wait_alu 0xfffe
	s_delay_alu instid0(VALU_DEP_1) | instskip(SKIP_3) | instid1(VALU_DEP_1)
	v_fma_f64 v[96:97], v[94:95], v[96:97], s[2:3]
	s_mov_b32 s2, 0x55555511
	s_mov_b32 s3, 0x3fc55555
	s_wait_alu 0xfffe
	v_fma_f64 v[96:97], v[94:95], v[96:97], s[2:3]
	s_mov_b32 s2, 11
	s_mov_b32 s3, 0x3fe00000
	s_wait_alu 0xfffe
	s_delay_alu instid0(VALU_DEP_1) | instskip(NEXT) | instid1(VALU_DEP_1)
	v_fma_f64 v[96:97], v[94:95], v[96:97], s[2:3]
	v_fma_f64 v[96:97], v[94:95], v[96:97], 1.0
	s_delay_alu instid0(VALU_DEP_1) | instskip(NEXT) | instid1(VALU_DEP_1)
	v_fma_f64 v[88:89], v[94:95], v[96:97], 1.0
	v_ldexp_f64 v[88:89], v[88:89], v18
	s_delay_alu instid0(VALU_DEP_1) | instskip(SKIP_1) | instid1(VALU_DEP_1)
	v_add_f64_e32 v[88:89], -1.0, v[88:89]
	s_wait_alu 0xfffd
	v_cndmask_b32_e32 v18, 0x7ff00000, v89, vcc_lo
	s_and_b32 vcc_lo, s0, vcc_lo
	s_wait_alu 0xfffe
	s_delay_alu instid0(VALU_DEP_2) | instskip(NEXT) | instid1(VALU_DEP_2)
	v_cndmask_b32_e32 v70, 0, v88, vcc_lo
	v_cndmask_b32_e64 v71, 0xbff00000, v18, s0
	s_delay_alu instid0(VALU_DEP_1) | instskip(NEXT) | instid1(VALU_DEP_1)
	v_mul_f64_e32 v[64:65], v[64:65], v[70:71]
	v_div_scale_f64 v[70:71], null, v[66:67], v[66:67], v[64:65]
	s_delay_alu instid0(VALU_DEP_1) | instskip(NEXT) | instid1(TRANS32_DEP_1)
	v_rcp_f64_e32 v[88:89], v[70:71]
	v_fma_f64 v[94:95], -v[70:71], v[88:89], 1.0
	s_delay_alu instid0(VALU_DEP_1) | instskip(NEXT) | instid1(VALU_DEP_1)
	v_fma_f64 v[88:89], v[88:89], v[94:95], v[88:89]
	v_fma_f64 v[94:95], -v[70:71], v[88:89], 1.0
	s_delay_alu instid0(VALU_DEP_1) | instskip(SKIP_1) | instid1(VALU_DEP_1)
	v_fma_f64 v[88:89], v[88:89], v[94:95], v[88:89]
	v_div_scale_f64 v[94:95], vcc_lo, v[64:65], v[66:67], v[64:65]
	v_mul_f64_e32 v[96:97], v[94:95], v[88:89]
	s_delay_alu instid0(VALU_DEP_1) | instskip(SKIP_1) | instid1(VALU_DEP_1)
	v_fma_f64 v[70:71], -v[70:71], v[96:97], v[94:95]
	s_wait_alu 0xfffd
	v_div_fmas_f64 v[70:71], v[70:71], v[88:89], v[96:97]
	s_delay_alu instid0(VALU_DEP_1)
	v_div_fixup_f64 v[70:71], v[70:71], v[66:67], v[64:65]
.LBB0_37:
	s_wait_alu 0xfffe
	s_or_b32 exec_lo, exec_lo, s1
	s_delay_alu instid0(VALU_DEP_1)
	v_add_f64_e32 v[64:65], v[48:49], v[70:71]
	s_mov_b32 s0, 0xb6db6db7
	s_mov_b32 s1, 0x4006db6d
	;; [unrolled: 1-line block ×6, first 2 shown]
	global_store_b64 v[176:177], v[64:65], off
	s_wait_alu 0xfffe
	v_add_f64_e32 v[64:65], s[0:1], v[170:171]
	s_delay_alu instid0(VALU_DEP_1) | instskip(SKIP_1) | instid1(VALU_DEP_2)
	v_mul_f64_e32 v[66:67], s[2:3], v[64:65]
	v_cmp_ngt_f64_e64 s0, 0xc090cc00, v[64:65]
	v_rndne_f64_e32 v[66:67], v[66:67]
	s_delay_alu instid0(VALU_DEP_1) | instskip(SKIP_1) | instid1(VALU_DEP_2)
	v_fma_f64 v[70:71], v[66:67], s[4:5], v[64:65]
	v_cvt_i32_f64_e32 v18, v[66:67]
	v_fma_f64 v[70:71], v[66:67], s[6:7], v[70:71]
	s_delay_alu instid0(VALU_DEP_1) | instskip(NEXT) | instid1(VALU_DEP_1)
	v_fma_f64 v[88:89], v[70:71], s[14:15], s[8:9]
	v_fma_f64 v[88:89], v[70:71], v[88:89], s[16:17]
	s_delay_alu instid0(VALU_DEP_1) | instskip(NEXT) | instid1(VALU_DEP_1)
	v_fma_f64 v[88:89], v[70:71], v[88:89], s[18:19]
	;; [unrolled: 3-line block ×5, first 2 shown]
	v_fma_f64 v[88:89], v[70:71], v[88:89], 1.0
	s_delay_alu instid0(VALU_DEP_1) | instskip(NEXT) | instid1(VALU_DEP_1)
	v_fma_f64 v[70:71], v[70:71], v[88:89], 1.0
	v_ldexp_f64 v[66:67], v[70:71], v18
	s_delay_alu instid0(VALU_DEP_1) | instskip(NEXT) | instid1(VALU_DEP_1)
	v_add_f64_e32 v[66:67], 1.0, v[66:67]
	v_div_scale_f64 v[70:71], null, v[66:67], v[66:67], 1.0
	s_delay_alu instid0(VALU_DEP_1) | instskip(NEXT) | instid1(TRANS32_DEP_1)
	v_rcp_f64_e32 v[88:89], v[70:71]
	v_fma_f64 v[94:95], -v[70:71], v[88:89], 1.0
	s_delay_alu instid0(VALU_DEP_1) | instskip(NEXT) | instid1(VALU_DEP_1)
	v_fma_f64 v[88:89], v[88:89], v[94:95], v[88:89]
	v_fma_f64 v[94:95], -v[70:71], v[88:89], 1.0
	s_delay_alu instid0(VALU_DEP_1) | instskip(SKIP_1) | instid1(VALU_DEP_1)
	v_fma_f64 v[88:89], v[88:89], v[94:95], v[88:89]
	v_div_scale_f64 v[94:95], vcc_lo, 1.0, v[66:67], 1.0
	v_mul_f64_e32 v[96:97], v[94:95], v[88:89]
	s_delay_alu instid0(VALU_DEP_1) | instskip(SKIP_1) | instid1(VALU_DEP_1)
	v_fma_f64 v[70:71], -v[70:71], v[96:97], v[94:95]
	s_wait_alu 0xfffd
	v_div_fmas_f64 v[70:71], v[70:71], v[88:89], v[96:97]
	v_cmp_nlt_f64_e32 vcc_lo, 0x40900000, v[64:65]
	s_delay_alu instid0(VALU_DEP_2) | instskip(SKIP_1) | instid1(VALU_DEP_1)
	v_div_fixup_f64 v[66:67], v[70:71], v[66:67], 1.0
	s_wait_alu 0xfffd
	v_cndmask_b32_e32 v18, 0, v67, vcc_lo
	s_and_b32 vcc_lo, s0, vcc_lo
	s_wait_alu 0xfffe
	s_delay_alu instid0(VALU_DEP_2) | instskip(SKIP_2) | instid1(VALU_DEP_1)
	v_cndmask_b32_e32 v64, 0, v66, vcc_lo
	v_add_f64_e32 v[66:67], 0x40080000, v[168:169]
	v_cndmask_b32_e64 v65, 0x3ff00000, v18, s0
	v_add_f64_e64 v[64:65], v[64:65], -v[46:47]
	s_delay_alu instid0(VALU_DEP_3) | instskip(SKIP_2) | instid1(VALU_DEP_3)
	v_mul_f64_e32 v[70:71], s[2:3], v[66:67]
	v_cmp_nlt_f64_e32 vcc_lo, 0x40900000, v[66:67]
	v_cmp_ngt_f64_e64 s0, 0xc090cc00, v[66:67]
	v_rndne_f64_e32 v[70:71], v[70:71]
	s_delay_alu instid0(VALU_DEP_1) | instskip(SKIP_1) | instid1(VALU_DEP_2)
	v_fma_f64 v[88:89], v[70:71], s[4:5], v[66:67]
	v_cvt_i32_f64_e32 v18, v[70:71]
	v_fma_f64 v[88:89], v[70:71], s[6:7], v[88:89]
	s_delay_alu instid0(VALU_DEP_1) | instskip(NEXT) | instid1(VALU_DEP_1)
	v_fma_f64 v[94:95], v[88:89], s[14:15], s[8:9]
	v_fma_f64 v[94:95], v[88:89], v[94:95], s[16:17]
	s_delay_alu instid0(VALU_DEP_1) | instskip(NEXT) | instid1(VALU_DEP_1)
	v_fma_f64 v[94:95], v[88:89], v[94:95], s[18:19]
	;; [unrolled: 3-line block ×5, first 2 shown]
	v_fma_f64 v[94:95], v[88:89], v[94:95], 1.0
	s_delay_alu instid0(VALU_DEP_1) | instskip(NEXT) | instid1(VALU_DEP_1)
	v_fma_f64 v[88:89], v[88:89], v[94:95], 1.0
	v_ldexp_f64 v[70:71], v[88:89], v18
	s_delay_alu instid0(VALU_DEP_1) | instskip(SKIP_1) | instid1(VALU_DEP_1)
	v_add_f64_e32 v[70:71], 1.0, v[70:71]
	s_wait_alu 0xfffd
	v_cndmask_b32_e32 v18, 0x7ff00000, v71, vcc_lo
	s_and_b32 vcc_lo, s0, vcc_lo
	s_wait_alu 0xfffe
	s_delay_alu instid0(VALU_DEP_2) | instskip(NEXT) | instid1(VALU_DEP_2)
	v_cndmask_b32_e32 v176, 0, v70, vcc_lo
	v_cndmask_b32_e64 v177, 0x3ff00000, v18, s0
	s_mov_b32 s0, 0xcccccccd
	s_mov_b32 s1, 0x3ff4cccc
	s_delay_alu instid0(VALU_DEP_1) | instskip(NEXT) | instid1(VALU_DEP_1)
	v_div_scale_f64 v[66:67], null, v[176:177], v[176:177], 0x40668000
	v_rcp_f64_e32 v[70:71], v[66:67]
	s_delay_alu instid0(TRANS32_DEP_1) | instskip(NEXT) | instid1(VALU_DEP_1)
	v_fma_f64 v[88:89], -v[66:67], v[70:71], 1.0
	v_fma_f64 v[70:71], v[70:71], v[88:89], v[70:71]
	s_delay_alu instid0(VALU_DEP_1) | instskip(NEXT) | instid1(VALU_DEP_1)
	v_fma_f64 v[88:89], -v[66:67], v[70:71], 1.0
	v_fma_f64 v[70:71], v[70:71], v[88:89], v[70:71]
	v_div_scale_f64 v[88:89], vcc_lo, 0x40668000, v[176:177], 0x40668000
	s_delay_alu instid0(VALU_DEP_1) | instskip(NEXT) | instid1(VALU_DEP_1)
	v_mul_f64_e32 v[94:95], v[88:89], v[70:71]
	v_fma_f64 v[66:67], -v[66:67], v[94:95], v[88:89]
	s_wait_alu 0xfffd
	s_delay_alu instid0(VALU_DEP_1) | instskip(SKIP_2) | instid1(VALU_DEP_2)
	v_div_fmas_f64 v[66:67], v[66:67], v[70:71], v[94:95]
	s_wait_alu 0xfffe
	v_add_f64_e64 v[70:71], -v[168:169], s[0:1]
	v_div_fixup_f64 v[66:67], v[66:67], v[176:177], 0x40668000
	s_delay_alu instid0(VALU_DEP_2) | instskip(SKIP_1) | instid1(VALU_DEP_3)
	v_mul_f64_e32 v[88:89], s[2:3], v[70:71]
	v_cmp_ngt_f64_e64 s0, 0xc090cc00, v[70:71]
	v_add_f64_e32 v[66:67], 0x40340000, v[66:67]
	s_delay_alu instid0(VALU_DEP_3) | instskip(NEXT) | instid1(VALU_DEP_1)
	v_rndne_f64_e32 v[88:89], v[88:89]
	v_fma_f64 v[94:95], v[88:89], s[4:5], v[70:71]
	v_cvt_i32_f64_e32 v18, v[88:89]
	s_delay_alu instid0(VALU_DEP_2) | instskip(NEXT) | instid1(VALU_DEP_1)
	v_fma_f64 v[94:95], v[88:89], s[6:7], v[94:95]
	v_fma_f64 v[96:97], v[94:95], s[14:15], s[8:9]
	s_delay_alu instid0(VALU_DEP_1) | instskip(NEXT) | instid1(VALU_DEP_1)
	v_fma_f64 v[96:97], v[94:95], v[96:97], s[16:17]
	v_fma_f64 v[96:97], v[94:95], v[96:97], s[18:19]
	s_delay_alu instid0(VALU_DEP_1) | instskip(NEXT) | instid1(VALU_DEP_1)
	v_fma_f64 v[96:97], v[94:95], v[96:97], s[20:21]
	v_fma_f64 v[96:97], v[94:95], v[96:97], s[22:23]
	s_delay_alu instid0(VALU_DEP_1) | instskip(NEXT) | instid1(VALU_DEP_1)
	v_fma_f64 v[96:97], v[94:95], v[96:97], s[24:25]
	v_fma_f64 v[96:97], v[94:95], v[96:97], s[26:27]
	s_delay_alu instid0(VALU_DEP_1) | instskip(NEXT) | instid1(VALU_DEP_1)
	v_fma_f64 v[96:97], v[94:95], v[96:97], s[28:29]
	v_fma_f64 v[96:97], v[94:95], v[96:97], s[30:31]
	s_delay_alu instid0(VALU_DEP_1) | instskip(NEXT) | instid1(VALU_DEP_1)
	v_fma_f64 v[96:97], v[94:95], v[96:97], 1.0
	v_fma_f64 v[94:95], v[94:95], v[96:97], 1.0
	s_delay_alu instid0(VALU_DEP_1) | instskip(NEXT) | instid1(VALU_DEP_1)
	v_ldexp_f64 v[88:89], v[94:95], v18
	v_add_f64_e32 v[88:89], 1.0, v[88:89]
	s_delay_alu instid0(VALU_DEP_1) | instskip(NEXT) | instid1(VALU_DEP_1)
	v_div_scale_f64 v[94:95], null, v[88:89], v[88:89], 0x40690000
	v_rcp_f64_e32 v[96:97], v[94:95]
	s_delay_alu instid0(TRANS32_DEP_1) | instskip(NEXT) | instid1(VALU_DEP_1)
	v_fma_f64 v[178:179], -v[94:95], v[96:97], 1.0
	v_fma_f64 v[96:97], v[96:97], v[178:179], v[96:97]
	s_delay_alu instid0(VALU_DEP_1) | instskip(NEXT) | instid1(VALU_DEP_1)
	v_fma_f64 v[178:179], -v[94:95], v[96:97], 1.0
	v_fma_f64 v[96:97], v[96:97], v[178:179], v[96:97]
	v_div_scale_f64 v[178:179], vcc_lo, 0x40690000, v[88:89], 0x40690000
	s_delay_alu instid0(VALU_DEP_1) | instskip(NEXT) | instid1(VALU_DEP_1)
	v_mul_f64_e32 v[180:181], v[178:179], v[96:97]
	v_fma_f64 v[94:95], -v[94:95], v[180:181], v[178:179]
	s_wait_alu 0xfffd
	s_delay_alu instid0(VALU_DEP_1) | instskip(SKIP_1) | instid1(VALU_DEP_2)
	v_div_fmas_f64 v[94:95], v[94:95], v[96:97], v[180:181]
	v_cmp_nlt_f64_e32 vcc_lo, 0x40900000, v[70:71]
	v_div_fixup_f64 v[88:89], v[94:95], v[88:89], 0x40690000
	s_wait_alu 0xfffd
	s_delay_alu instid0(VALU_DEP_1) | instskip(SKIP_2) | instid1(VALU_DEP_2)
	v_cndmask_b32_e32 v18, 0, v89, vcc_lo
	s_and_b32 vcc_lo, s0, vcc_lo
	s_wait_alu 0xfffe
	v_cndmask_b32_e32 v70, 0, v88, vcc_lo
	s_delay_alu instid0(VALU_DEP_2) | instskip(NEXT) | instid1(VALU_DEP_1)
	v_cndmask_b32_e64 v71, 0x40690000, v18, s0
	v_add_f64_e32 v[66:67], v[70:71], v[66:67]
	v_add_f64_e32 v[70:71], 0x403b0000, v[2:3]
	s_delay_alu instid0(VALU_DEP_1) | instskip(NEXT) | instid1(VALU_DEP_1)
	v_mul_f64_e64 v[178:179], v[70:71], -v[70:71]
	v_div_scale_f64 v[70:71], null, 0x406c2000, 0x406c2000, v[178:179]
	s_delay_alu instid0(VALU_DEP_1) | instskip(NEXT) | instid1(TRANS32_DEP_1)
	v_rcp_f64_e32 v[88:89], v[70:71]
	v_fma_f64 v[94:95], -v[70:71], v[88:89], 1.0
	s_delay_alu instid0(VALU_DEP_1) | instskip(NEXT) | instid1(VALU_DEP_1)
	v_fma_f64 v[88:89], v[88:89], v[94:95], v[88:89]
	v_fma_f64 v[94:95], -v[70:71], v[88:89], 1.0
	s_delay_alu instid0(VALU_DEP_1) | instskip(SKIP_1) | instid1(VALU_DEP_1)
	v_fma_f64 v[88:89], v[88:89], v[94:95], v[88:89]
	v_div_scale_f64 v[94:95], vcc_lo, v[178:179], 0x406c2000, v[178:179]
	v_mul_f64_e32 v[96:97], v[94:95], v[88:89]
	s_delay_alu instid0(VALU_DEP_1) | instskip(SKIP_1) | instid1(VALU_DEP_1)
	v_fma_f64 v[70:71], -v[70:71], v[96:97], v[94:95]
	s_wait_alu 0xfffd
	v_div_fmas_f64 v[70:71], v[70:71], v[88:89], v[96:97]
	s_delay_alu instid0(VALU_DEP_1) | instskip(NEXT) | instid1(VALU_DEP_1)
	v_div_fixup_f64 v[70:71], v[70:71], 0x406c2000, v[178:179]
	v_mul_f64_e32 v[88:89], s[2:3], v[70:71]
	v_cmp_nlt_f64_e32 vcc_lo, 0x40900000, v[70:71]
	v_cmp_ngt_f64_e64 s0, 0xc090cc00, v[70:71]
	s_delay_alu instid0(VALU_DEP_3) | instskip(NEXT) | instid1(VALU_DEP_1)
	v_rndne_f64_e32 v[88:89], v[88:89]
	v_fma_f64 v[94:95], v[88:89], s[4:5], v[70:71]
	v_cvt_i32_f64_e32 v18, v[88:89]
	s_delay_alu instid0(VALU_DEP_2) | instskip(NEXT) | instid1(VALU_DEP_1)
	v_fma_f64 v[94:95], v[88:89], s[6:7], v[94:95]
	v_fma_f64 v[96:97], v[94:95], s[14:15], s[8:9]
	s_delay_alu instid0(VALU_DEP_1) | instskip(NEXT) | instid1(VALU_DEP_1)
	v_fma_f64 v[96:97], v[94:95], v[96:97], s[16:17]
	v_fma_f64 v[96:97], v[94:95], v[96:97], s[18:19]
	s_delay_alu instid0(VALU_DEP_1) | instskip(NEXT) | instid1(VALU_DEP_1)
	;; [unrolled: 3-line block ×5, first 2 shown]
	v_fma_f64 v[96:97], v[94:95], v[96:97], 1.0
	v_fma_f64 v[94:95], v[94:95], v[96:97], 1.0
	s_delay_alu instid0(VALU_DEP_1) | instskip(NEXT) | instid1(VALU_DEP_1)
	v_ldexp_f64 v[88:89], v[94:95], v18
	v_mul_f64_e32 v[88:89], 0x40913a00, v[88:89]
	s_wait_alu 0xfffd
	s_delay_alu instid0(VALU_DEP_1) | instskip(SKIP_2) | instid1(VALU_DEP_2)
	v_cndmask_b32_e32 v18, 0x7ff00000, v89, vcc_lo
	s_and_b32 vcc_lo, s0, vcc_lo
	s_wait_alu 0xfffe
	v_cndmask_b32_e32 v70, 0, v88, vcc_lo
	s_delay_alu instid0(VALU_DEP_2) | instskip(SKIP_2) | instid1(VALU_DEP_1)
	v_cndmask_b32_e64 v71, 0, v18, s0
	s_mov_b32 s0, 0xe2308c3a
	s_mov_b32 s1, 0x3e45798e
	v_add_f64_e32 v[66:67], v[70:71], v[66:67]
	s_delay_alu instid0(VALU_DEP_1) | instskip(NEXT) | instid1(VALU_DEP_1)
	v_div_scale_f64 v[70:71], null, v[66:67], v[66:67], v[64:65]
	v_rcp_f64_e32 v[88:89], v[70:71]
	s_delay_alu instid0(TRANS32_DEP_1) | instskip(NEXT) | instid1(VALU_DEP_1)
	v_fma_f64 v[94:95], -v[70:71], v[88:89], 1.0
	v_fma_f64 v[88:89], v[88:89], v[94:95], v[88:89]
	s_delay_alu instid0(VALU_DEP_1) | instskip(NEXT) | instid1(VALU_DEP_1)
	v_fma_f64 v[94:95], -v[70:71], v[88:89], 1.0
	v_fma_f64 v[88:89], v[88:89], v[94:95], v[88:89]
	v_div_scale_f64 v[94:95], vcc_lo, v[64:65], v[66:67], v[64:65]
	s_delay_alu instid0(VALU_DEP_1) | instskip(NEXT) | instid1(VALU_DEP_1)
	v_mul_f64_e32 v[96:97], v[94:95], v[88:89]
	v_fma_f64 v[70:71], -v[70:71], v[96:97], v[94:95]
	s_wait_alu 0xfffd
	s_delay_alu instid0(VALU_DEP_1) | instskip(NEXT) | instid1(VALU_DEP_1)
	v_div_fmas_f64 v[70:71], v[70:71], v[88:89], v[96:97]
	v_div_fixup_f64 v[64:65], v[70:71], v[66:67], v[64:65]
	v_div_scale_f64 v[70:71], null, v[66:67], v[66:67], -1.0
	s_delay_alu instid0(VALU_DEP_1) | instskip(NEXT) | instid1(TRANS32_DEP_1)
	v_rcp_f64_e32 v[88:89], v[70:71]
	v_fma_f64 v[94:95], -v[70:71], v[88:89], 1.0
	s_delay_alu instid0(VALU_DEP_1) | instskip(NEXT) | instid1(VALU_DEP_1)
	v_fma_f64 v[88:89], v[88:89], v[94:95], v[88:89]
	v_fma_f64 v[94:95], -v[70:71], v[88:89], 1.0
	s_delay_alu instid0(VALU_DEP_1) | instskip(SKIP_1) | instid1(VALU_DEP_1)
	v_fma_f64 v[88:89], v[88:89], v[94:95], v[88:89]
	v_div_scale_f64 v[94:95], vcc_lo, -1.0, v[66:67], -1.0
	v_mul_f64_e32 v[96:97], v[94:95], v[88:89]
	s_delay_alu instid0(VALU_DEP_1) | instskip(SKIP_1) | instid1(VALU_DEP_1)
	v_fma_f64 v[70:71], -v[70:71], v[96:97], v[94:95]
	s_wait_alu 0xfffd
	v_div_fmas_f64 v[70:71], v[70:71], v[88:89], v[96:97]
	s_delay_alu instid0(VALU_DEP_1) | instskip(SKIP_1) | instid1(VALU_DEP_1)
	v_div_fixup_f64 v[66:67], v[70:71], v[66:67], -1.0
                                        ; implicit-def: $vgpr70_vgpr71
	s_wait_alu 0xfffe
	v_cmp_ngt_f64_e64 s0, |v[66:67]|, s[0:1]
	s_and_saveexec_b32 s1, s0
	s_wait_alu 0xfffe
	s_xor_b32 s0, exec_lo, s1
	s_cbranch_execz .LBB0_39
; %bb.38:
	v_mul_f64_e32 v[70:71], s[12:13], v[64:65]
                                        ; implicit-def: $vgpr66_vgpr67
                                        ; implicit-def: $vgpr64_vgpr65
.LBB0_39:
	s_wait_alu 0xfffe
	s_and_not1_saveexec_b32 s1, s0
	s_cbranch_execz .LBB0_41
; %bb.40:
	v_mul_f64_e32 v[70:71], s[12:13], v[66:67]
	s_mov_b32 s4, 0x6a5dcb37
	s_mov_b32 s5, 0x3e5ade15
	s_delay_alu instid0(VALU_DEP_1) | instskip(SKIP_4) | instid1(VALU_DEP_3)
	v_mul_f64_e32 v[88:89], s[2:3], v[70:71]
	s_mov_b32 s2, 0xfefa39ef
	s_mov_b32 s3, 0xbfe62e42
	v_cmp_nlt_f64_e32 vcc_lo, 0x40900000, v[70:71]
	v_cmp_ngt_f64_e64 s0, 0xc090cc00, v[70:71]
	v_rndne_f64_e32 v[88:89], v[88:89]
	s_wait_alu 0xfffe
	s_delay_alu instid0(VALU_DEP_1) | instskip(SKIP_4) | instid1(VALU_DEP_2)
	v_fma_f64 v[94:95], v[88:89], s[2:3], v[70:71]
	s_mov_b32 s2, 0x3b39803f
	s_mov_b32 s3, 0xbc7abc9e
	v_cvt_i32_f64_e32 v18, v[88:89]
	s_wait_alu 0xfffe
	v_fma_f64 v[94:95], v[88:89], s[2:3], v[94:95]
	s_mov_b32 s2, 0xfca7ab0c
	s_mov_b32 s3, 0x3e928af3
	s_wait_alu 0xfffe
	s_delay_alu instid0(VALU_DEP_1) | instskip(SKIP_3) | instid1(VALU_DEP_1)
	v_fma_f64 v[96:97], v[94:95], s[4:5], s[2:3]
	s_mov_b32 s2, 0x623fde64
	s_mov_b32 s3, 0x3ec71dee
	s_wait_alu 0xfffe
	v_fma_f64 v[96:97], v[94:95], v[96:97], s[2:3]
	s_mov_b32 s2, 0x7c89e6b0
	s_mov_b32 s3, 0x3efa0199
	s_wait_alu 0xfffe
	s_delay_alu instid0(VALU_DEP_1) | instskip(SKIP_3) | instid1(VALU_DEP_1)
	v_fma_f64 v[96:97], v[94:95], v[96:97], s[2:3]
	s_mov_b32 s2, 0x14761f6e
	s_mov_b32 s3, 0x3f2a01a0
	;; [unrolled: 9-line block ×4, first 2 shown]
	s_wait_alu 0xfffe
	v_fma_f64 v[96:97], v[94:95], v[96:97], s[2:3]
	s_mov_b32 s2, 11
	s_mov_b32 s3, 0x3fe00000
	s_wait_alu 0xfffe
	s_delay_alu instid0(VALU_DEP_1) | instskip(NEXT) | instid1(VALU_DEP_1)
	v_fma_f64 v[96:97], v[94:95], v[96:97], s[2:3]
	v_fma_f64 v[96:97], v[94:95], v[96:97], 1.0
	s_delay_alu instid0(VALU_DEP_1) | instskip(NEXT) | instid1(VALU_DEP_1)
	v_fma_f64 v[88:89], v[94:95], v[96:97], 1.0
	v_ldexp_f64 v[88:89], v[88:89], v18
	s_delay_alu instid0(VALU_DEP_1) | instskip(SKIP_1) | instid1(VALU_DEP_1)
	v_add_f64_e32 v[88:89], -1.0, v[88:89]
	s_wait_alu 0xfffd
	v_cndmask_b32_e32 v18, 0x7ff00000, v89, vcc_lo
	s_and_b32 vcc_lo, s0, vcc_lo
	s_wait_alu 0xfffe
	s_delay_alu instid0(VALU_DEP_2) | instskip(NEXT) | instid1(VALU_DEP_2)
	v_cndmask_b32_e32 v70, 0, v88, vcc_lo
	v_cndmask_b32_e64 v71, 0xbff00000, v18, s0
	s_delay_alu instid0(VALU_DEP_1) | instskip(NEXT) | instid1(VALU_DEP_1)
	v_mul_f64_e32 v[64:65], v[64:65], v[70:71]
	v_div_scale_f64 v[70:71], null, v[66:67], v[66:67], v[64:65]
	s_delay_alu instid0(VALU_DEP_1) | instskip(NEXT) | instid1(TRANS32_DEP_1)
	v_rcp_f64_e32 v[88:89], v[70:71]
	v_fma_f64 v[94:95], -v[70:71], v[88:89], 1.0
	s_delay_alu instid0(VALU_DEP_1) | instskip(NEXT) | instid1(VALU_DEP_1)
	v_fma_f64 v[88:89], v[88:89], v[94:95], v[88:89]
	v_fma_f64 v[94:95], -v[70:71], v[88:89], 1.0
	s_delay_alu instid0(VALU_DEP_1) | instskip(SKIP_1) | instid1(VALU_DEP_1)
	v_fma_f64 v[88:89], v[88:89], v[94:95], v[88:89]
	v_div_scale_f64 v[94:95], vcc_lo, v[64:65], v[66:67], v[64:65]
	v_mul_f64_e32 v[96:97], v[94:95], v[88:89]
	s_delay_alu instid0(VALU_DEP_1) | instskip(SKIP_1) | instid1(VALU_DEP_1)
	v_fma_f64 v[70:71], -v[70:71], v[96:97], v[94:95]
	s_wait_alu 0xfffd
	v_div_fmas_f64 v[70:71], v[70:71], v[88:89], v[96:97]
	s_delay_alu instid0(VALU_DEP_1)
	v_div_fixup_f64 v[70:71], v[70:71], v[66:67], v[64:65]
.LBB0_41:
	s_wait_alu 0xfffe
	s_or_b32 exec_lo, exec_lo, s1
	s_delay_alu instid0(VALU_DEP_1)
	v_add_f64_e32 v[64:65], v[46:47], v[70:71]
	s_mov_b32 s2, 0x652b82fe
	s_mov_b32 s3, 0x3ff71547
	s_mov_b32 s4, 0xfefa39ef
	s_mov_b32 s5, 0xbfe62e42
	s_mov_b32 s0, 0xd70a3d71
	s_mov_b32 s1, 0x3fe570a3
	global_store_b64 v[172:173], v[64:65], off
	v_add_f64_e32 v[64:65], 0x40140000, v[170:171]
	s_wait_alu 0xfffe
	s_delay_alu instid0(VALU_DEP_1) | instskip(NEXT) | instid1(VALU_DEP_1)
	v_mul_f64_e32 v[66:67], s[2:3], v[64:65]
	v_rndne_f64_e32 v[66:67], v[66:67]
	s_delay_alu instid0(VALU_DEP_1) | instskip(SKIP_1) | instid1(VALU_DEP_2)
	v_fma_f64 v[70:71], v[66:67], s[4:5], v[64:65]
	v_cvt_i32_f64_e32 v18, v[66:67]
	v_fma_f64 v[70:71], v[66:67], s[6:7], v[70:71]
	s_delay_alu instid0(VALU_DEP_1) | instskip(NEXT) | instid1(VALU_DEP_1)
	v_fma_f64 v[88:89], v[70:71], s[14:15], s[8:9]
	v_fma_f64 v[88:89], v[70:71], v[88:89], s[16:17]
	s_delay_alu instid0(VALU_DEP_1) | instskip(NEXT) | instid1(VALU_DEP_1)
	v_fma_f64 v[88:89], v[70:71], v[88:89], s[18:19]
	;; [unrolled: 3-line block ×5, first 2 shown]
	v_fma_f64 v[88:89], v[70:71], v[88:89], 1.0
	s_delay_alu instid0(VALU_DEP_1) | instskip(NEXT) | instid1(VALU_DEP_1)
	v_fma_f64 v[70:71], v[70:71], v[88:89], 1.0
	v_ldexp_f64 v[66:67], v[70:71], v18
	s_delay_alu instid0(VALU_DEP_1) | instskip(NEXT) | instid1(VALU_DEP_1)
	v_add_f64_e32 v[66:67], 1.0, v[66:67]
	v_div_scale_f64 v[70:71], null, v[66:67], v[66:67], s[0:1]
	s_delay_alu instid0(VALU_DEP_1) | instskip(NEXT) | instid1(TRANS32_DEP_1)
	v_rcp_f64_e32 v[88:89], v[70:71]
	v_fma_f64 v[94:95], -v[70:71], v[88:89], 1.0
	s_delay_alu instid0(VALU_DEP_1) | instskip(NEXT) | instid1(VALU_DEP_1)
	v_fma_f64 v[88:89], v[88:89], v[94:95], v[88:89]
	v_fma_f64 v[94:95], -v[70:71], v[88:89], 1.0
	s_delay_alu instid0(VALU_DEP_1) | instskip(SKIP_1) | instid1(VALU_DEP_1)
	v_fma_f64 v[88:89], v[88:89], v[94:95], v[88:89]
	v_div_scale_f64 v[94:95], vcc_lo, s[0:1], v[66:67], s[0:1]
	v_mul_f64_e32 v[96:97], v[94:95], v[88:89]
	s_delay_alu instid0(VALU_DEP_1) | instskip(SKIP_1) | instid1(VALU_DEP_1)
	v_fma_f64 v[70:71], -v[70:71], v[96:97], v[94:95]
	s_wait_alu 0xfffd
	v_div_fmas_f64 v[70:71], v[70:71], v[88:89], v[96:97]
	v_cmp_nlt_f64_e32 vcc_lo, 0x40900000, v[64:65]
	s_delay_alu instid0(VALU_DEP_2) | instskip(SKIP_3) | instid1(VALU_DEP_1)
	v_div_fixup_f64 v[66:67], v[70:71], v[66:67], s[0:1]
	s_mov_b32 s0, 0x51eb851f
	s_mov_b32 s1, 0x3fd51eb8
	s_wait_alu 0xfffe
	v_add_f64_e32 v[66:67], s[0:1], v[66:67]
	s_wait_alu 0xfffd
	s_delay_alu instid0(VALU_DEP_1) | instskip(NEXT) | instid1(VALU_DEP_2)
	v_cndmask_b32_e32 v18, 0x51eb851f, v66, vcc_lo
	v_cndmask_b32_e32 v19, 0x3fd51eb8, v67, vcc_lo
	v_add_f64_e64 v[66:67], 0x40040000, -v[168:169]
	v_cmp_ngt_f64_e32 vcc_lo, 0xc090cc00, v[64:65]
	s_delay_alu instid0(VALU_DEP_2) | instskip(SKIP_4) | instid1(VALU_DEP_2)
	v_mul_f64_e32 v[70:71], s[2:3], v[66:67]
	s_wait_alu 0xfffd
	v_cndmask_b32_e32 v64, 0, v18, vcc_lo
	v_cndmask_b32_e32 v65, 0x3ff00000, v19, vcc_lo
	v_cmp_ngt_f64_e64 s0, 0xc090cc00, v[66:67]
	v_add_f64_e64 v[64:65], v[64:65], -v[50:51]
	v_rndne_f64_e32 v[70:71], v[70:71]
	s_delay_alu instid0(VALU_DEP_1) | instskip(SKIP_1) | instid1(VALU_DEP_2)
	v_fma_f64 v[88:89], v[70:71], s[4:5], v[66:67]
	v_cvt_i32_f64_e32 v18, v[70:71]
	v_fma_f64 v[88:89], v[70:71], s[6:7], v[88:89]
	s_delay_alu instid0(VALU_DEP_1) | instskip(NEXT) | instid1(VALU_DEP_1)
	v_fma_f64 v[94:95], v[88:89], s[14:15], s[8:9]
	v_fma_f64 v[94:95], v[88:89], v[94:95], s[16:17]
	s_delay_alu instid0(VALU_DEP_1) | instskip(NEXT) | instid1(VALU_DEP_1)
	v_fma_f64 v[94:95], v[88:89], v[94:95], s[18:19]
	;; [unrolled: 3-line block ×5, first 2 shown]
	v_fma_f64 v[94:95], v[88:89], v[94:95], 1.0
	s_delay_alu instid0(VALU_DEP_1) | instskip(NEXT) | instid1(VALU_DEP_1)
	v_fma_f64 v[88:89], v[88:89], v[94:95], 1.0
	v_ldexp_f64 v[70:71], v[88:89], v18
	s_delay_alu instid0(VALU_DEP_1) | instskip(NEXT) | instid1(VALU_DEP_1)
	v_add_f64_e32 v[70:71], 1.0, v[70:71]
	v_div_scale_f64 v[88:89], null, v[70:71], v[70:71], 0x403f0000
	s_delay_alu instid0(VALU_DEP_1) | instskip(NEXT) | instid1(TRANS32_DEP_1)
	v_rcp_f64_e32 v[94:95], v[88:89]
	v_fma_f64 v[96:97], -v[88:89], v[94:95], 1.0
	s_delay_alu instid0(VALU_DEP_1) | instskip(NEXT) | instid1(VALU_DEP_1)
	v_fma_f64 v[94:95], v[94:95], v[96:97], v[94:95]
	v_fma_f64 v[96:97], -v[88:89], v[94:95], 1.0
	s_delay_alu instid0(VALU_DEP_1) | instskip(SKIP_1) | instid1(VALU_DEP_1)
	v_fma_f64 v[94:95], v[94:95], v[96:97], v[94:95]
	v_div_scale_f64 v[96:97], vcc_lo, 0x403f0000, v[70:71], 0x403f0000
	v_mul_f64_e32 v[168:169], v[96:97], v[94:95]
	s_delay_alu instid0(VALU_DEP_1) | instskip(SKIP_1) | instid1(VALU_DEP_1)
	v_fma_f64 v[88:89], -v[88:89], v[168:169], v[96:97]
	s_wait_alu 0xfffd
	v_div_fmas_f64 v[88:89], v[88:89], v[94:95], v[168:169]
	v_cmp_nlt_f64_e32 vcc_lo, 0x40900000, v[66:67]
	s_delay_alu instid0(VALU_DEP_2) | instskip(SKIP_1) | instid1(VALU_DEP_1)
	v_div_fixup_f64 v[70:71], v[88:89], v[70:71], 0x403f0000
	s_wait_alu 0xfffd
	v_cndmask_b32_e32 v18, 0, v71, vcc_lo
	s_and_b32 vcc_lo, s0, vcc_lo
	s_wait_alu 0xfffe
	s_delay_alu instid0(VALU_DEP_2) | instskip(SKIP_2) | instid1(VALU_DEP_2)
	v_cndmask_b32_e32 v66, 0, v70, vcc_lo
	v_div_scale_f64 v[70:71], null, v[176:177], v[176:177], 0x40540000
	v_cndmask_b32_e64 v67, 0x403f0000, v18, s0
	v_rcp_f64_e32 v[88:89], v[70:71]
	s_delay_alu instid0(TRANS32_DEP_1) | instskip(NEXT) | instid1(VALU_DEP_1)
	v_fma_f64 v[94:95], -v[70:71], v[88:89], 1.0
	v_fma_f64 v[88:89], v[88:89], v[94:95], v[88:89]
	s_delay_alu instid0(VALU_DEP_1) | instskip(NEXT) | instid1(VALU_DEP_1)
	v_fma_f64 v[94:95], -v[70:71], v[88:89], 1.0
	v_fma_f64 v[88:89], v[88:89], v[94:95], v[88:89]
	v_div_scale_f64 v[94:95], vcc_lo, 0x40540000, v[176:177], 0x40540000
	s_delay_alu instid0(VALU_DEP_1) | instskip(NEXT) | instid1(VALU_DEP_1)
	v_mul_f64_e32 v[96:97], v[94:95], v[88:89]
	v_fma_f64 v[70:71], -v[70:71], v[96:97], v[94:95]
	s_wait_alu 0xfffd
	s_delay_alu instid0(VALU_DEP_1) | instskip(NEXT) | instid1(VALU_DEP_1)
	v_div_fmas_f64 v[70:71], v[70:71], v[88:89], v[96:97]
	v_div_fixup_f64 v[70:71], v[70:71], v[176:177], 0x40540000
	s_delay_alu instid0(VALU_DEP_1) | instskip(SKIP_1) | instid1(VALU_DEP_1)
	v_add_f64_e32 v[66:67], v[66:67], v[70:71]
	v_div_scale_f64 v[70:71], null, 0x406e0000, 0x406e0000, v[178:179]
	v_rcp_f64_e32 v[88:89], v[70:71]
	s_delay_alu instid0(TRANS32_DEP_1) | instskip(NEXT) | instid1(VALU_DEP_1)
	v_fma_f64 v[94:95], -v[70:71], v[88:89], 1.0
	v_fma_f64 v[88:89], v[88:89], v[94:95], v[88:89]
	s_delay_alu instid0(VALU_DEP_1) | instskip(NEXT) | instid1(VALU_DEP_1)
	v_fma_f64 v[94:95], -v[70:71], v[88:89], 1.0
	v_fma_f64 v[88:89], v[88:89], v[94:95], v[88:89]
	v_div_scale_f64 v[94:95], vcc_lo, v[178:179], 0x406e0000, v[178:179]
	s_delay_alu instid0(VALU_DEP_1) | instskip(NEXT) | instid1(VALU_DEP_1)
	v_mul_f64_e32 v[96:97], v[94:95], v[88:89]
	v_fma_f64 v[70:71], -v[70:71], v[96:97], v[94:95]
	s_wait_alu 0xfffd
	s_delay_alu instid0(VALU_DEP_1) | instskip(NEXT) | instid1(VALU_DEP_1)
	v_div_fmas_f64 v[70:71], v[70:71], v[88:89], v[96:97]
	v_div_fixup_f64 v[70:71], v[70:71], 0x406e0000, v[178:179]
	s_delay_alu instid0(VALU_DEP_1) | instskip(SKIP_2) | instid1(VALU_DEP_3)
	v_mul_f64_e32 v[88:89], s[2:3], v[70:71]
	v_cmp_nlt_f64_e32 vcc_lo, 0x40900000, v[70:71]
	v_cmp_ngt_f64_e64 s0, 0xc090cc00, v[70:71]
	v_rndne_f64_e32 v[88:89], v[88:89]
	s_delay_alu instid0(VALU_DEP_1) | instskip(SKIP_1) | instid1(VALU_DEP_2)
	v_fma_f64 v[94:95], v[88:89], s[4:5], v[70:71]
	v_cvt_i32_f64_e32 v18, v[88:89]
	v_fma_f64 v[94:95], v[88:89], s[6:7], v[94:95]
	s_delay_alu instid0(VALU_DEP_1) | instskip(NEXT) | instid1(VALU_DEP_1)
	v_fma_f64 v[96:97], v[94:95], s[14:15], s[8:9]
	v_fma_f64 v[96:97], v[94:95], v[96:97], s[16:17]
	s_delay_alu instid0(VALU_DEP_1) | instskip(NEXT) | instid1(VALU_DEP_1)
	v_fma_f64 v[96:97], v[94:95], v[96:97], s[18:19]
	;; [unrolled: 3-line block ×5, first 2 shown]
	v_fma_f64 v[96:97], v[94:95], v[96:97], 1.0
	s_delay_alu instid0(VALU_DEP_1) | instskip(NEXT) | instid1(VALU_DEP_1)
	v_fma_f64 v[94:95], v[94:95], v[96:97], 1.0
	v_ldexp_f64 v[88:89], v[94:95], v18
	s_delay_alu instid0(VALU_DEP_1) | instskip(SKIP_1) | instid1(VALU_DEP_1)
	v_mul_f64_e32 v[88:89], 0x40819000, v[88:89]
	s_wait_alu 0xfffd
	v_cndmask_b32_e32 v18, 0x7ff00000, v89, vcc_lo
	s_and_b32 vcc_lo, s0, vcc_lo
	s_wait_alu 0xfffe
	s_delay_alu instid0(VALU_DEP_2) | instskip(NEXT) | instid1(VALU_DEP_2)
	v_cndmask_b32_e32 v70, 0, v88, vcc_lo
	v_cndmask_b32_e64 v71, 0, v18, s0
	s_mov_b32 s0, 0xe2308c3a
	s_mov_b32 s1, 0x3e45798e
	s_delay_alu instid0(VALU_DEP_1) | instskip(NEXT) | instid1(VALU_DEP_1)
	v_add_f64_e32 v[66:67], v[70:71], v[66:67]
	v_div_scale_f64 v[70:71], null, v[66:67], v[66:67], v[64:65]
	s_delay_alu instid0(VALU_DEP_1) | instskip(NEXT) | instid1(TRANS32_DEP_1)
	v_rcp_f64_e32 v[88:89], v[70:71]
	v_fma_f64 v[94:95], -v[70:71], v[88:89], 1.0
	s_delay_alu instid0(VALU_DEP_1) | instskip(NEXT) | instid1(VALU_DEP_1)
	v_fma_f64 v[88:89], v[88:89], v[94:95], v[88:89]
	v_fma_f64 v[94:95], -v[70:71], v[88:89], 1.0
	s_delay_alu instid0(VALU_DEP_1) | instskip(SKIP_1) | instid1(VALU_DEP_1)
	v_fma_f64 v[88:89], v[88:89], v[94:95], v[88:89]
	v_div_scale_f64 v[94:95], vcc_lo, v[64:65], v[66:67], v[64:65]
	v_mul_f64_e32 v[96:97], v[94:95], v[88:89]
	s_delay_alu instid0(VALU_DEP_1) | instskip(SKIP_1) | instid1(VALU_DEP_1)
	v_fma_f64 v[70:71], -v[70:71], v[96:97], v[94:95]
	s_wait_alu 0xfffd
	v_div_fmas_f64 v[70:71], v[70:71], v[88:89], v[96:97]
	s_delay_alu instid0(VALU_DEP_1) | instskip(SKIP_1) | instid1(VALU_DEP_1)
	v_div_fixup_f64 v[64:65], v[70:71], v[66:67], v[64:65]
	v_div_scale_f64 v[70:71], null, v[66:67], v[66:67], -1.0
	v_rcp_f64_e32 v[88:89], v[70:71]
	s_delay_alu instid0(TRANS32_DEP_1) | instskip(NEXT) | instid1(VALU_DEP_1)
	v_fma_f64 v[94:95], -v[70:71], v[88:89], 1.0
	v_fma_f64 v[88:89], v[88:89], v[94:95], v[88:89]
	s_delay_alu instid0(VALU_DEP_1) | instskip(NEXT) | instid1(VALU_DEP_1)
	v_fma_f64 v[94:95], -v[70:71], v[88:89], 1.0
	v_fma_f64 v[88:89], v[88:89], v[94:95], v[88:89]
	v_div_scale_f64 v[94:95], vcc_lo, -1.0, v[66:67], -1.0
	s_delay_alu instid0(VALU_DEP_1) | instskip(NEXT) | instid1(VALU_DEP_1)
	v_mul_f64_e32 v[96:97], v[94:95], v[88:89]
	v_fma_f64 v[70:71], -v[70:71], v[96:97], v[94:95]
	s_wait_alu 0xfffd
	s_delay_alu instid0(VALU_DEP_1) | instskip(NEXT) | instid1(VALU_DEP_1)
	v_div_fmas_f64 v[70:71], v[70:71], v[88:89], v[96:97]
	v_div_fixup_f64 v[66:67], v[70:71], v[66:67], -1.0
                                        ; implicit-def: $vgpr70_vgpr71
	s_wait_alu 0xfffe
	s_delay_alu instid0(VALU_DEP_1)
	v_cmp_ngt_f64_e64 s0, |v[66:67]|, s[0:1]
	s_and_saveexec_b32 s1, s0
	s_wait_alu 0xfffe
	s_xor_b32 s0, exec_lo, s1
	s_cbranch_execz .LBB0_43
; %bb.42:
	v_mul_f64_e32 v[70:71], s[12:13], v[64:65]
                                        ; implicit-def: $vgpr66_vgpr67
                                        ; implicit-def: $vgpr64_vgpr65
.LBB0_43:
	s_wait_alu 0xfffe
	s_and_not1_saveexec_b32 s1, s0
	s_cbranch_execz .LBB0_45
; %bb.44:
	v_mul_f64_e32 v[70:71], s[12:13], v[66:67]
	s_mov_b32 s4, 0x6a5dcb37
	s_mov_b32 s5, 0x3e5ade15
	s_delay_alu instid0(VALU_DEP_1) | instskip(SKIP_4) | instid1(VALU_DEP_3)
	v_mul_f64_e32 v[88:89], s[2:3], v[70:71]
	s_mov_b32 s2, 0xfefa39ef
	s_mov_b32 s3, 0xbfe62e42
	v_cmp_nlt_f64_e32 vcc_lo, 0x40900000, v[70:71]
	v_cmp_ngt_f64_e64 s0, 0xc090cc00, v[70:71]
	v_rndne_f64_e32 v[88:89], v[88:89]
	s_wait_alu 0xfffe
	s_delay_alu instid0(VALU_DEP_1) | instskip(SKIP_4) | instid1(VALU_DEP_2)
	v_fma_f64 v[94:95], v[88:89], s[2:3], v[70:71]
	s_mov_b32 s2, 0x3b39803f
	s_mov_b32 s3, 0xbc7abc9e
	v_cvt_i32_f64_e32 v18, v[88:89]
	s_wait_alu 0xfffe
	v_fma_f64 v[94:95], v[88:89], s[2:3], v[94:95]
	s_mov_b32 s2, 0xfca7ab0c
	s_mov_b32 s3, 0x3e928af3
	s_wait_alu 0xfffe
	s_delay_alu instid0(VALU_DEP_1) | instskip(SKIP_3) | instid1(VALU_DEP_1)
	v_fma_f64 v[96:97], v[94:95], s[4:5], s[2:3]
	s_mov_b32 s2, 0x623fde64
	s_mov_b32 s3, 0x3ec71dee
	s_wait_alu 0xfffe
	v_fma_f64 v[96:97], v[94:95], v[96:97], s[2:3]
	s_mov_b32 s2, 0x7c89e6b0
	s_mov_b32 s3, 0x3efa0199
	s_wait_alu 0xfffe
	s_delay_alu instid0(VALU_DEP_1) | instskip(SKIP_3) | instid1(VALU_DEP_1)
	v_fma_f64 v[96:97], v[94:95], v[96:97], s[2:3]
	s_mov_b32 s2, 0x14761f6e
	s_mov_b32 s3, 0x3f2a01a0
	;; [unrolled: 9-line block ×4, first 2 shown]
	s_wait_alu 0xfffe
	v_fma_f64 v[96:97], v[94:95], v[96:97], s[2:3]
	s_mov_b32 s2, 11
	s_mov_b32 s3, 0x3fe00000
	s_wait_alu 0xfffe
	s_delay_alu instid0(VALU_DEP_1) | instskip(NEXT) | instid1(VALU_DEP_1)
	v_fma_f64 v[96:97], v[94:95], v[96:97], s[2:3]
	v_fma_f64 v[96:97], v[94:95], v[96:97], 1.0
	s_delay_alu instid0(VALU_DEP_1) | instskip(NEXT) | instid1(VALU_DEP_1)
	v_fma_f64 v[88:89], v[94:95], v[96:97], 1.0
	v_ldexp_f64 v[88:89], v[88:89], v18
	s_delay_alu instid0(VALU_DEP_1) | instskip(SKIP_1) | instid1(VALU_DEP_1)
	v_add_f64_e32 v[88:89], -1.0, v[88:89]
	s_wait_alu 0xfffd
	v_cndmask_b32_e32 v18, 0x7ff00000, v89, vcc_lo
	s_and_b32 vcc_lo, s0, vcc_lo
	s_wait_alu 0xfffe
	s_delay_alu instid0(VALU_DEP_2) | instskip(NEXT) | instid1(VALU_DEP_2)
	v_cndmask_b32_e32 v70, 0, v88, vcc_lo
	v_cndmask_b32_e64 v71, 0xbff00000, v18, s0
	s_delay_alu instid0(VALU_DEP_1) | instskip(NEXT) | instid1(VALU_DEP_1)
	v_mul_f64_e32 v[64:65], v[64:65], v[70:71]
	v_div_scale_f64 v[70:71], null, v[66:67], v[66:67], v[64:65]
	s_delay_alu instid0(VALU_DEP_1) | instskip(NEXT) | instid1(TRANS32_DEP_1)
	v_rcp_f64_e32 v[88:89], v[70:71]
	v_fma_f64 v[94:95], -v[70:71], v[88:89], 1.0
	s_delay_alu instid0(VALU_DEP_1) | instskip(NEXT) | instid1(VALU_DEP_1)
	v_fma_f64 v[88:89], v[88:89], v[94:95], v[88:89]
	v_fma_f64 v[94:95], -v[70:71], v[88:89], 1.0
	s_delay_alu instid0(VALU_DEP_1) | instskip(SKIP_1) | instid1(VALU_DEP_1)
	v_fma_f64 v[88:89], v[88:89], v[94:95], v[88:89]
	v_div_scale_f64 v[94:95], vcc_lo, v[64:65], v[66:67], v[64:65]
	v_mul_f64_e32 v[96:97], v[94:95], v[88:89]
	s_delay_alu instid0(VALU_DEP_1) | instskip(SKIP_1) | instid1(VALU_DEP_1)
	v_fma_f64 v[70:71], -v[70:71], v[96:97], v[94:95]
	s_wait_alu 0xfffd
	v_div_fmas_f64 v[70:71], v[70:71], v[88:89], v[96:97]
	s_delay_alu instid0(VALU_DEP_1)
	v_div_fixup_f64 v[70:71], v[70:71], v[66:67], v[64:65]
.LBB0_45:
	s_wait_alu 0xfffe
	s_or_b32 exec_lo, exec_lo, s1
	s_delay_alu instid0(VALU_DEP_1)
	v_add_f64_e32 v[64:65], v[50:51], v[70:71]
	s_wait_loadcnt 0x0
	v_mul_f64_e32 v[180:181], v[58:59], v[58:59]
	s_mov_b32 s0, 0x33333333
	s_mov_b32 s1, 0x3fe33333
	global_store_b64 v[164:165], v[64:65], off
	v_fma_f64 v[64:65], 0x40790000, v[180:181], 1.0
	s_wait_alu 0xfffe
	s_delay_alu instid0(VALU_DEP_1) | instskip(NEXT) | instid1(VALU_DEP_1)
	v_div_scale_f64 v[66:67], null, v[64:65], v[64:65], s[0:1]
	v_rcp_f64_e32 v[70:71], v[66:67]
	s_delay_alu instid0(TRANS32_DEP_1) | instskip(NEXT) | instid1(VALU_DEP_1)
	v_fma_f64 v[88:89], -v[66:67], v[70:71], 1.0
	v_fma_f64 v[70:71], v[70:71], v[88:89], v[70:71]
	s_delay_alu instid0(VALU_DEP_1) | instskip(NEXT) | instid1(VALU_DEP_1)
	v_fma_f64 v[88:89], -v[66:67], v[70:71], 1.0
	v_fma_f64 v[70:71], v[70:71], v[88:89], v[70:71]
	v_div_scale_f64 v[88:89], vcc_lo, s[0:1], v[64:65], s[0:1]
	s_delay_alu instid0(VALU_DEP_1) | instskip(NEXT) | instid1(VALU_DEP_1)
	v_mul_f64_e32 v[94:95], v[88:89], v[70:71]
	v_fma_f64 v[66:67], -v[66:67], v[94:95], v[88:89]
	s_wait_alu 0xfffd
	s_delay_alu instid0(VALU_DEP_1) | instskip(SKIP_1) | instid1(VALU_DEP_2)
	v_div_fmas_f64 v[66:67], v[66:67], v[70:71], v[94:95]
	v_div_scale_f64 v[70:71], null, v[64:65], v[64:65], 0x40540000
	v_div_fixup_f64 v[66:67], v[66:67], v[64:65], s[0:1]
	s_delay_alu instid0(VALU_DEP_2) | instskip(SKIP_3) | instid1(VALU_DEP_1)
	v_rcp_f64_e32 v[88:89], v[70:71]
	s_mov_b32 s0, 0x9999999a
	s_mov_b32 s1, 0x3fd99999
	s_wait_alu 0xfffe
	v_add_f64_e32 v[66:67], s[0:1], v[66:67]
	s_mov_b32 s0, 0xe2308c3a
	s_mov_b32 s1, 0x3e45798e
	s_delay_alu instid0(TRANS32_DEP_1) | instskip(NEXT) | instid1(VALU_DEP_1)
	v_fma_f64 v[94:95], -v[70:71], v[88:89], 1.0
	v_fma_f64 v[88:89], v[88:89], v[94:95], v[88:89]
	s_delay_alu instid0(VALU_DEP_1) | instskip(NEXT) | instid1(VALU_DEP_1)
	v_fma_f64 v[94:95], -v[70:71], v[88:89], 1.0
	v_fma_f64 v[88:89], v[88:89], v[94:95], v[88:89]
	v_div_scale_f64 v[94:95], vcc_lo, 0x40540000, v[64:65], 0x40540000
	s_delay_alu instid0(VALU_DEP_1) | instskip(NEXT) | instid1(VALU_DEP_1)
	v_mul_f64_e32 v[96:97], v[94:95], v[88:89]
	v_fma_f64 v[70:71], -v[70:71], v[96:97], v[94:95]
	s_wait_alu 0xfffd
	s_delay_alu instid0(VALU_DEP_1) | instskip(NEXT) | instid1(VALU_DEP_1)
	v_div_fmas_f64 v[70:71], v[70:71], v[88:89], v[96:97]
	v_div_fixup_f64 v[64:65], v[70:71], v[64:65], 0x40540000
	s_delay_alu instid0(VALU_DEP_1) | instskip(SKIP_1) | instid1(VALU_DEP_1)
	v_add_f64_e32 v[70:71], 2.0, v[64:65]
	v_add_f64_e64 v[64:65], v[66:67], -v[52:53]
	v_div_scale_f64 v[66:67], null, v[70:71], v[70:71], v[64:65]
	s_delay_alu instid0(VALU_DEP_1) | instskip(NEXT) | instid1(TRANS32_DEP_1)
	v_rcp_f64_e32 v[88:89], v[66:67]
	v_fma_f64 v[94:95], -v[66:67], v[88:89], 1.0
	s_delay_alu instid0(VALU_DEP_1) | instskip(NEXT) | instid1(VALU_DEP_1)
	v_fma_f64 v[88:89], v[88:89], v[94:95], v[88:89]
	v_fma_f64 v[94:95], -v[66:67], v[88:89], 1.0
	s_delay_alu instid0(VALU_DEP_1) | instskip(SKIP_1) | instid1(VALU_DEP_1)
	v_fma_f64 v[88:89], v[88:89], v[94:95], v[88:89]
	v_div_scale_f64 v[94:95], vcc_lo, v[64:65], v[70:71], v[64:65]
	v_mul_f64_e32 v[96:97], v[94:95], v[88:89]
	s_delay_alu instid0(VALU_DEP_1) | instskip(SKIP_1) | instid1(VALU_DEP_1)
	v_fma_f64 v[66:67], -v[66:67], v[96:97], v[94:95]
	s_wait_alu 0xfffd
	v_div_fmas_f64 v[66:67], v[66:67], v[88:89], v[96:97]
	s_delay_alu instid0(VALU_DEP_1) | instskip(SKIP_1) | instid1(VALU_DEP_1)
	v_div_fixup_f64 v[64:65], v[66:67], v[70:71], v[64:65]
	v_div_scale_f64 v[66:67], null, v[70:71], v[70:71], -1.0
	v_rcp_f64_e32 v[88:89], v[66:67]
	s_delay_alu instid0(TRANS32_DEP_1) | instskip(NEXT) | instid1(VALU_DEP_1)
	v_fma_f64 v[94:95], -v[66:67], v[88:89], 1.0
	v_fma_f64 v[88:89], v[88:89], v[94:95], v[88:89]
	s_delay_alu instid0(VALU_DEP_1) | instskip(NEXT) | instid1(VALU_DEP_1)
	v_fma_f64 v[94:95], -v[66:67], v[88:89], 1.0
	v_fma_f64 v[88:89], v[88:89], v[94:95], v[88:89]
	v_div_scale_f64 v[94:95], vcc_lo, -1.0, v[70:71], -1.0
	s_delay_alu instid0(VALU_DEP_1) | instskip(NEXT) | instid1(VALU_DEP_1)
	v_mul_f64_e32 v[96:97], v[94:95], v[88:89]
	v_fma_f64 v[66:67], -v[66:67], v[96:97], v[94:95]
	s_wait_alu 0xfffd
	s_delay_alu instid0(VALU_DEP_1) | instskip(NEXT) | instid1(VALU_DEP_1)
	v_div_fmas_f64 v[66:67], v[66:67], v[88:89], v[96:97]
	v_div_fixup_f64 v[66:67], v[66:67], v[70:71], -1.0
                                        ; implicit-def: $vgpr70_vgpr71
	s_wait_alu 0xfffe
	s_delay_alu instid0(VALU_DEP_1)
	v_cmp_ngt_f64_e64 s0, |v[66:67]|, s[0:1]
	s_and_saveexec_b32 s1, s0
	s_wait_alu 0xfffe
	s_xor_b32 s0, exec_lo, s1
	s_cbranch_execz .LBB0_47
; %bb.46:
	v_mul_f64_e32 v[70:71], s[12:13], v[64:65]
                                        ; implicit-def: $vgpr66_vgpr67
                                        ; implicit-def: $vgpr64_vgpr65
.LBB0_47:
	s_wait_alu 0xfffe
	s_and_not1_saveexec_b32 s1, s0
	s_cbranch_execz .LBB0_49
; %bb.48:
	v_mul_f64_e32 v[70:71], s[12:13], v[66:67]
	s_mov_b32 s2, 0x652b82fe
	s_mov_b32 s3, 0x3ff71547
	s_mov_b32 s4, 0x6a5dcb37
	s_mov_b32 s5, 0x3e5ade15
	s_wait_alu 0xfffe
	s_delay_alu instid0(VALU_DEP_1) | instskip(SKIP_4) | instid1(VALU_DEP_3)
	v_mul_f64_e32 v[88:89], s[2:3], v[70:71]
	s_mov_b32 s2, 0xfefa39ef
	s_mov_b32 s3, 0xbfe62e42
	v_cmp_nlt_f64_e32 vcc_lo, 0x40900000, v[70:71]
	v_cmp_ngt_f64_e64 s0, 0xc090cc00, v[70:71]
	v_rndne_f64_e32 v[88:89], v[88:89]
	s_wait_alu 0xfffe
	s_delay_alu instid0(VALU_DEP_1) | instskip(SKIP_4) | instid1(VALU_DEP_2)
	v_fma_f64 v[94:95], v[88:89], s[2:3], v[70:71]
	s_mov_b32 s2, 0x3b39803f
	s_mov_b32 s3, 0xbc7abc9e
	v_cvt_i32_f64_e32 v18, v[88:89]
	s_wait_alu 0xfffe
	v_fma_f64 v[94:95], v[88:89], s[2:3], v[94:95]
	s_mov_b32 s2, 0xfca7ab0c
	s_mov_b32 s3, 0x3e928af3
	s_wait_alu 0xfffe
	s_delay_alu instid0(VALU_DEP_1) | instskip(SKIP_3) | instid1(VALU_DEP_1)
	v_fma_f64 v[96:97], v[94:95], s[4:5], s[2:3]
	s_mov_b32 s2, 0x623fde64
	s_mov_b32 s3, 0x3ec71dee
	s_wait_alu 0xfffe
	v_fma_f64 v[96:97], v[94:95], v[96:97], s[2:3]
	s_mov_b32 s2, 0x7c89e6b0
	s_mov_b32 s3, 0x3efa0199
	s_wait_alu 0xfffe
	s_delay_alu instid0(VALU_DEP_1) | instskip(SKIP_3) | instid1(VALU_DEP_1)
	v_fma_f64 v[96:97], v[94:95], v[96:97], s[2:3]
	s_mov_b32 s2, 0x14761f6e
	s_mov_b32 s3, 0x3f2a01a0
	;; [unrolled: 9-line block ×4, first 2 shown]
	s_wait_alu 0xfffe
	v_fma_f64 v[96:97], v[94:95], v[96:97], s[2:3]
	s_mov_b32 s2, 11
	s_mov_b32 s3, 0x3fe00000
	s_wait_alu 0xfffe
	s_delay_alu instid0(VALU_DEP_1) | instskip(NEXT) | instid1(VALU_DEP_1)
	v_fma_f64 v[96:97], v[94:95], v[96:97], s[2:3]
	v_fma_f64 v[96:97], v[94:95], v[96:97], 1.0
	s_delay_alu instid0(VALU_DEP_1) | instskip(NEXT) | instid1(VALU_DEP_1)
	v_fma_f64 v[88:89], v[94:95], v[96:97], 1.0
	v_ldexp_f64 v[88:89], v[88:89], v18
	s_delay_alu instid0(VALU_DEP_1) | instskip(SKIP_1) | instid1(VALU_DEP_1)
	v_add_f64_e32 v[88:89], -1.0, v[88:89]
	s_wait_alu 0xfffd
	v_cndmask_b32_e32 v18, 0x7ff00000, v89, vcc_lo
	s_and_b32 vcc_lo, s0, vcc_lo
	s_wait_alu 0xfffe
	s_delay_alu instid0(VALU_DEP_2) | instskip(NEXT) | instid1(VALU_DEP_2)
	v_cndmask_b32_e32 v70, 0, v88, vcc_lo
	v_cndmask_b32_e64 v71, 0xbff00000, v18, s0
	s_delay_alu instid0(VALU_DEP_1) | instskip(NEXT) | instid1(VALU_DEP_1)
	v_mul_f64_e32 v[64:65], v[64:65], v[70:71]
	v_div_scale_f64 v[70:71], null, v[66:67], v[66:67], v[64:65]
	s_delay_alu instid0(VALU_DEP_1) | instskip(NEXT) | instid1(TRANS32_DEP_1)
	v_rcp_f64_e32 v[88:89], v[70:71]
	v_fma_f64 v[94:95], -v[70:71], v[88:89], 1.0
	s_delay_alu instid0(VALU_DEP_1) | instskip(NEXT) | instid1(VALU_DEP_1)
	v_fma_f64 v[88:89], v[88:89], v[94:95], v[88:89]
	v_fma_f64 v[94:95], -v[70:71], v[88:89], 1.0
	s_delay_alu instid0(VALU_DEP_1) | instskip(SKIP_1) | instid1(VALU_DEP_1)
	v_fma_f64 v[88:89], v[88:89], v[94:95], v[88:89]
	v_div_scale_f64 v[94:95], vcc_lo, v[64:65], v[66:67], v[64:65]
	v_mul_f64_e32 v[96:97], v[94:95], v[88:89]
	s_delay_alu instid0(VALU_DEP_1) | instskip(SKIP_1) | instid1(VALU_DEP_1)
	v_fma_f64 v[70:71], -v[70:71], v[96:97], v[94:95]
	s_wait_alu 0xfffd
	v_div_fmas_f64 v[70:71], v[70:71], v[88:89], v[96:97]
	s_delay_alu instid0(VALU_DEP_1)
	v_div_fixup_f64 v[70:71], v[70:71], v[66:67], v[64:65]
.LBB0_49:
	s_wait_alu 0xfffe
	s_or_b32 exec_lo, exec_lo, s1
	s_delay_alu instid0(VALU_DEP_1)
	v_add_f64_e32 v[64:65], v[52:53], v[70:71]
	s_mov_b32 s2, 0x652b82fe
	s_mov_b32 s3, 0x3ff71547
	;; [unrolled: 1-line block ×4, first 2 shown]
	global_store_b64 v[162:163], v[64:65], off
	v_add_f64_e32 v[64:65], 4.0, v[174:175]
	s_wait_alu 0xfffe
	s_delay_alu instid0(VALU_DEP_1) | instskip(SKIP_1) | instid1(VALU_DEP_2)
	v_mul_f64_e32 v[66:67], s[2:3], v[64:65]
	v_cmp_ngt_f64_e64 s0, 0xc090cc00, v[64:65]
	v_rndne_f64_e32 v[66:67], v[66:67]
	s_delay_alu instid0(VALU_DEP_1) | instskip(SKIP_1) | instid1(VALU_DEP_2)
	v_fma_f64 v[70:71], v[66:67], s[4:5], v[64:65]
	v_cvt_i32_f64_e32 v18, v[66:67]
	v_fma_f64 v[70:71], v[66:67], s[6:7], v[70:71]
	s_delay_alu instid0(VALU_DEP_1) | instskip(NEXT) | instid1(VALU_DEP_1)
	v_fma_f64 v[88:89], v[70:71], s[14:15], s[8:9]
	v_fma_f64 v[88:89], v[70:71], v[88:89], s[16:17]
	s_delay_alu instid0(VALU_DEP_1) | instskip(NEXT) | instid1(VALU_DEP_1)
	v_fma_f64 v[88:89], v[70:71], v[88:89], s[18:19]
	;; [unrolled: 3-line block ×5, first 2 shown]
	v_fma_f64 v[88:89], v[70:71], v[88:89], 1.0
	s_delay_alu instid0(VALU_DEP_1) | instskip(NEXT) | instid1(VALU_DEP_1)
	v_fma_f64 v[70:71], v[70:71], v[88:89], 1.0
	v_ldexp_f64 v[66:67], v[70:71], v18
	s_delay_alu instid0(VALU_DEP_1) | instskip(NEXT) | instid1(VALU_DEP_1)
	v_add_f64_e32 v[66:67], 1.0, v[66:67]
	v_div_scale_f64 v[70:71], null, v[66:67], v[66:67], 1.0
	s_delay_alu instid0(VALU_DEP_1) | instskip(NEXT) | instid1(TRANS32_DEP_1)
	v_rcp_f64_e32 v[88:89], v[70:71]
	v_fma_f64 v[94:95], -v[70:71], v[88:89], 1.0
	s_delay_alu instid0(VALU_DEP_1) | instskip(NEXT) | instid1(VALU_DEP_1)
	v_fma_f64 v[88:89], v[88:89], v[94:95], v[88:89]
	v_fma_f64 v[94:95], -v[70:71], v[88:89], 1.0
	s_delay_alu instid0(VALU_DEP_1) | instskip(SKIP_1) | instid1(VALU_DEP_1)
	v_fma_f64 v[88:89], v[88:89], v[94:95], v[88:89]
	v_div_scale_f64 v[94:95], vcc_lo, 1.0, v[66:67], 1.0
	v_mul_f64_e32 v[96:97], v[94:95], v[88:89]
	s_delay_alu instid0(VALU_DEP_1) | instskip(SKIP_1) | instid1(VALU_DEP_1)
	v_fma_f64 v[70:71], -v[70:71], v[96:97], v[94:95]
	s_wait_alu 0xfffd
	v_div_fmas_f64 v[70:71], v[70:71], v[88:89], v[96:97]
	v_cmp_nlt_f64_e32 vcc_lo, 0x40900000, v[64:65]
	s_delay_alu instid0(VALU_DEP_2) | instskip(SKIP_1) | instid1(VALU_DEP_1)
	v_div_fixup_f64 v[66:67], v[70:71], v[66:67], 1.0
	s_wait_alu 0xfffd
	v_cndmask_b32_e32 v18, 0, v67, vcc_lo
	s_and_b32 vcc_lo, s0, vcc_lo
	s_wait_alu 0xfffe
	s_delay_alu instid0(VALU_DEP_2) | instskip(SKIP_2) | instid1(VALU_DEP_1)
	v_cndmask_b32_e32 v64, 0, v66, vcc_lo
	v_add_f64_e32 v[66:67], -4.0, v[174:175]
	v_cndmask_b32_e64 v65, 0x3ff00000, v18, s0
	v_add_f64_e64 v[64:65], v[64:65], -v[8:9]
	s_delay_alu instid0(VALU_DEP_3) | instskip(SKIP_1) | instid1(VALU_DEP_2)
	v_mul_f64_e32 v[70:71], s[2:3], v[66:67]
	v_cmp_ngt_f64_e64 s0, 0xc090cc00, v[66:67]
	v_rndne_f64_e32 v[70:71], v[70:71]
	s_delay_alu instid0(VALU_DEP_1) | instskip(SKIP_1) | instid1(VALU_DEP_2)
	v_fma_f64 v[88:89], v[70:71], s[4:5], v[66:67]
	v_cvt_i32_f64_e32 v18, v[70:71]
	v_fma_f64 v[88:89], v[70:71], s[6:7], v[88:89]
	s_delay_alu instid0(VALU_DEP_1) | instskip(NEXT) | instid1(VALU_DEP_1)
	v_fma_f64 v[94:95], v[88:89], s[14:15], s[8:9]
	v_fma_f64 v[94:95], v[88:89], v[94:95], s[16:17]
	s_delay_alu instid0(VALU_DEP_1) | instskip(NEXT) | instid1(VALU_DEP_1)
	v_fma_f64 v[94:95], v[88:89], v[94:95], s[18:19]
	;; [unrolled: 3-line block ×5, first 2 shown]
	v_fma_f64 v[94:95], v[88:89], v[94:95], 1.0
	s_delay_alu instid0(VALU_DEP_1) | instskip(NEXT) | instid1(VALU_DEP_1)
	v_fma_f64 v[88:89], v[88:89], v[94:95], 1.0
	v_ldexp_f64 v[70:71], v[88:89], v18
	s_delay_alu instid0(VALU_DEP_1) | instskip(NEXT) | instid1(VALU_DEP_1)
	v_add_f64_e32 v[70:71], 1.0, v[70:71]
	v_div_scale_f64 v[88:89], null, v[70:71], v[70:71], 0x40140000
	s_delay_alu instid0(VALU_DEP_1) | instskip(NEXT) | instid1(TRANS32_DEP_1)
	v_rcp_f64_e32 v[94:95], v[88:89]
	v_fma_f64 v[96:97], -v[88:89], v[94:95], 1.0
	s_delay_alu instid0(VALU_DEP_1) | instskip(NEXT) | instid1(VALU_DEP_1)
	v_fma_f64 v[94:95], v[94:95], v[96:97], v[94:95]
	v_fma_f64 v[96:97], -v[88:89], v[94:95], 1.0
	s_delay_alu instid0(VALU_DEP_1) | instskip(SKIP_1) | instid1(VALU_DEP_1)
	v_fma_f64 v[94:95], v[94:95], v[96:97], v[94:95]
	v_div_scale_f64 v[96:97], vcc_lo, 0x40140000, v[70:71], 0x40140000
	v_mul_f64_e32 v[162:163], v[96:97], v[94:95]
	s_delay_alu instid0(VALU_DEP_1) | instskip(SKIP_1) | instid1(VALU_DEP_1)
	v_fma_f64 v[88:89], -v[88:89], v[162:163], v[96:97]
	s_wait_alu 0xfffd
	v_div_fmas_f64 v[88:89], v[88:89], v[94:95], v[162:163]
	v_cmp_nlt_f64_e32 vcc_lo, 0x40900000, v[66:67]
	s_delay_alu instid0(VALU_DEP_2) | instskip(NEXT) | instid1(VALU_DEP_1)
	v_div_fixup_f64 v[70:71], v[88:89], v[70:71], 0x40140000
	v_add_f64_e32 v[70:71], 0x40080000, v[70:71]
	s_wait_alu 0xfffd
	s_delay_alu instid0(VALU_DEP_1) | instskip(SKIP_2) | instid1(VALU_DEP_2)
	v_cndmask_b32_e32 v18, 0x40080000, v71, vcc_lo
	s_and_b32 vcc_lo, s0, vcc_lo
	s_wait_alu 0xfffe
	v_cndmask_b32_e32 v66, 0, v70, vcc_lo
	v_add_f64_e32 v[70:71], 0x40468000, v[2:3]
	v_cndmask_b32_e64 v67, 0x40200000, v18, s0
	s_delay_alu instid0(VALU_DEP_2) | instskip(NEXT) | instid1(VALU_DEP_1)
	v_mul_f64_e32 v[70:71], v[70:71], v[70:71]
	v_div_scale_f64 v[88:89], null, 0xc0740000, 0xc0740000, v[70:71]
	s_delay_alu instid0(VALU_DEP_1) | instskip(NEXT) | instid1(TRANS32_DEP_1)
	v_rcp_f64_e32 v[94:95], v[88:89]
	v_fma_f64 v[96:97], -v[88:89], v[94:95], 1.0
	s_delay_alu instid0(VALU_DEP_1) | instskip(NEXT) | instid1(VALU_DEP_1)
	v_fma_f64 v[94:95], v[94:95], v[96:97], v[94:95]
	v_fma_f64 v[96:97], -v[88:89], v[94:95], 1.0
	s_delay_alu instid0(VALU_DEP_1) | instskip(SKIP_1) | instid1(VALU_DEP_1)
	v_fma_f64 v[94:95], v[94:95], v[96:97], v[94:95]
	v_div_scale_f64 v[96:97], vcc_lo, v[70:71], 0xc0740000, v[70:71]
	v_mul_f64_e32 v[162:163], v[96:97], v[94:95]
	s_delay_alu instid0(VALU_DEP_1) | instskip(SKIP_1) | instid1(VALU_DEP_1)
	v_fma_f64 v[88:89], -v[88:89], v[162:163], v[96:97]
	s_wait_alu 0xfffd
	v_div_fmas_f64 v[88:89], v[88:89], v[94:95], v[162:163]
	s_delay_alu instid0(VALU_DEP_1) | instskip(NEXT) | instid1(VALU_DEP_1)
	v_div_fixup_f64 v[70:71], v[88:89], 0xc0740000, v[70:71]
	v_mul_f64_e32 v[88:89], s[2:3], v[70:71]
	v_cmp_nlt_f64_e32 vcc_lo, 0x40900000, v[70:71]
	v_cmp_ngt_f64_e64 s0, 0xc090cc00, v[70:71]
	s_delay_alu instid0(VALU_DEP_3) | instskip(NEXT) | instid1(VALU_DEP_1)
	v_rndne_f64_e32 v[88:89], v[88:89]
	v_fma_f64 v[94:95], v[88:89], s[4:5], v[70:71]
	v_cvt_i32_f64_e32 v18, v[88:89]
	s_delay_alu instid0(VALU_DEP_2) | instskip(NEXT) | instid1(VALU_DEP_1)
	v_fma_f64 v[94:95], v[88:89], s[6:7], v[94:95]
	v_fma_f64 v[96:97], v[94:95], s[14:15], s[8:9]
	s_delay_alu instid0(VALU_DEP_1) | instskip(NEXT) | instid1(VALU_DEP_1)
	v_fma_f64 v[96:97], v[94:95], v[96:97], s[16:17]
	v_fma_f64 v[96:97], v[94:95], v[96:97], s[18:19]
	s_delay_alu instid0(VALU_DEP_1) | instskip(NEXT) | instid1(VALU_DEP_1)
	;; [unrolled: 3-line block ×5, first 2 shown]
	v_fma_f64 v[96:97], v[94:95], v[96:97], 1.0
	v_fma_f64 v[94:95], v[94:95], v[96:97], 1.0
	s_delay_alu instid0(VALU_DEP_1) | instskip(NEXT) | instid1(VALU_DEP_1)
	v_ldexp_f64 v[88:89], v[94:95], v18
	v_mul_f64_e32 v[88:89], 0x40554000, v[88:89]
	s_wait_alu 0xfffd
	s_delay_alu instid0(VALU_DEP_1) | instskip(SKIP_2) | instid1(VALU_DEP_2)
	v_cndmask_b32_e32 v18, 0x7ff00000, v89, vcc_lo
	s_and_b32 vcc_lo, s0, vcc_lo
	s_wait_alu 0xfffe
	v_cndmask_b32_e32 v70, 0, v88, vcc_lo
	s_delay_alu instid0(VALU_DEP_2) | instskip(SKIP_2) | instid1(VALU_DEP_1)
	v_cndmask_b32_e64 v71, 0, v18, s0
	s_mov_b32 s0, 0xe2308c3a
	s_mov_b32 s1, 0x3e45798e
	v_add_f64_e32 v[70:71], v[70:71], v[66:67]
	s_delay_alu instid0(VALU_DEP_1) | instskip(NEXT) | instid1(VALU_DEP_1)
	v_div_scale_f64 v[66:67], null, v[70:71], v[70:71], v[64:65]
	v_rcp_f64_e32 v[88:89], v[66:67]
	s_delay_alu instid0(TRANS32_DEP_1) | instskip(NEXT) | instid1(VALU_DEP_1)
	v_fma_f64 v[94:95], -v[66:67], v[88:89], 1.0
	v_fma_f64 v[88:89], v[88:89], v[94:95], v[88:89]
	s_delay_alu instid0(VALU_DEP_1) | instskip(NEXT) | instid1(VALU_DEP_1)
	v_fma_f64 v[94:95], -v[66:67], v[88:89], 1.0
	v_fma_f64 v[88:89], v[88:89], v[94:95], v[88:89]
	v_div_scale_f64 v[94:95], vcc_lo, v[64:65], v[70:71], v[64:65]
	s_delay_alu instid0(VALU_DEP_1) | instskip(NEXT) | instid1(VALU_DEP_1)
	v_mul_f64_e32 v[96:97], v[94:95], v[88:89]
	v_fma_f64 v[66:67], -v[66:67], v[96:97], v[94:95]
	s_wait_alu 0xfffd
	s_delay_alu instid0(VALU_DEP_1) | instskip(NEXT) | instid1(VALU_DEP_1)
	v_div_fmas_f64 v[66:67], v[66:67], v[88:89], v[96:97]
	v_div_fixup_f64 v[66:67], v[66:67], v[70:71], v[64:65]
	v_div_scale_f64 v[64:65], null, v[70:71], v[70:71], -1.0
	s_delay_alu instid0(VALU_DEP_1) | instskip(NEXT) | instid1(TRANS32_DEP_1)
	v_rcp_f64_e32 v[88:89], v[64:65]
	v_fma_f64 v[94:95], -v[64:65], v[88:89], 1.0
	s_delay_alu instid0(VALU_DEP_1) | instskip(NEXT) | instid1(VALU_DEP_1)
	v_fma_f64 v[88:89], v[88:89], v[94:95], v[88:89]
	v_fma_f64 v[94:95], -v[64:65], v[88:89], 1.0
	s_delay_alu instid0(VALU_DEP_1) | instskip(SKIP_1) | instid1(VALU_DEP_1)
	v_fma_f64 v[88:89], v[88:89], v[94:95], v[88:89]
	v_div_scale_f64 v[94:95], vcc_lo, -1.0, v[70:71], -1.0
	v_mul_f64_e32 v[96:97], v[94:95], v[88:89]
	s_delay_alu instid0(VALU_DEP_1) | instskip(SKIP_1) | instid1(VALU_DEP_1)
	v_fma_f64 v[64:65], -v[64:65], v[96:97], v[94:95]
	s_wait_alu 0xfffd
	v_div_fmas_f64 v[64:65], v[64:65], v[88:89], v[96:97]
	s_delay_alu instid0(VALU_DEP_1) | instskip(SKIP_1) | instid1(VALU_DEP_1)
	v_div_fixup_f64 v[70:71], v[64:65], v[70:71], -1.0
                                        ; implicit-def: $vgpr64_vgpr65
	s_wait_alu 0xfffe
	v_cmp_ngt_f64_e64 s0, |v[70:71]|, s[0:1]
	s_and_saveexec_b32 s1, s0
	s_wait_alu 0xfffe
	s_xor_b32 s0, exec_lo, s1
	s_cbranch_execz .LBB0_51
; %bb.50:
	v_mul_f64_e32 v[64:65], s[12:13], v[66:67]
                                        ; implicit-def: $vgpr70_vgpr71
                                        ; implicit-def: $vgpr66_vgpr67
.LBB0_51:
	s_wait_alu 0xfffe
	s_and_not1_saveexec_b32 s1, s0
	s_cbranch_execz .LBB0_53
; %bb.52:
	v_mul_f64_e32 v[64:65], s[12:13], v[70:71]
	s_mov_b32 s4, 0x6a5dcb37
	s_mov_b32 s5, 0x3e5ade15
	s_delay_alu instid0(VALU_DEP_1) | instskip(SKIP_4) | instid1(VALU_DEP_3)
	v_mul_f64_e32 v[88:89], s[2:3], v[64:65]
	s_mov_b32 s2, 0xfefa39ef
	s_mov_b32 s3, 0xbfe62e42
	v_cmp_nlt_f64_e32 vcc_lo, 0x40900000, v[64:65]
	v_cmp_ngt_f64_e64 s0, 0xc090cc00, v[64:65]
	v_rndne_f64_e32 v[88:89], v[88:89]
	s_wait_alu 0xfffe
	s_delay_alu instid0(VALU_DEP_1) | instskip(SKIP_4) | instid1(VALU_DEP_2)
	v_fma_f64 v[94:95], v[88:89], s[2:3], v[64:65]
	s_mov_b32 s2, 0x3b39803f
	s_mov_b32 s3, 0xbc7abc9e
	v_cvt_i32_f64_e32 v18, v[88:89]
	s_wait_alu 0xfffe
	v_fma_f64 v[94:95], v[88:89], s[2:3], v[94:95]
	s_mov_b32 s2, 0xfca7ab0c
	s_mov_b32 s3, 0x3e928af3
	s_wait_alu 0xfffe
	s_delay_alu instid0(VALU_DEP_1) | instskip(SKIP_3) | instid1(VALU_DEP_1)
	v_fma_f64 v[96:97], v[94:95], s[4:5], s[2:3]
	s_mov_b32 s2, 0x623fde64
	s_mov_b32 s3, 0x3ec71dee
	s_wait_alu 0xfffe
	v_fma_f64 v[96:97], v[94:95], v[96:97], s[2:3]
	s_mov_b32 s2, 0x7c89e6b0
	s_mov_b32 s3, 0x3efa0199
	s_wait_alu 0xfffe
	s_delay_alu instid0(VALU_DEP_1) | instskip(SKIP_3) | instid1(VALU_DEP_1)
	v_fma_f64 v[96:97], v[94:95], v[96:97], s[2:3]
	s_mov_b32 s2, 0x14761f6e
	s_mov_b32 s3, 0x3f2a01a0
	;; [unrolled: 9-line block ×4, first 2 shown]
	s_wait_alu 0xfffe
	v_fma_f64 v[96:97], v[94:95], v[96:97], s[2:3]
	s_mov_b32 s2, 11
	s_mov_b32 s3, 0x3fe00000
	s_wait_alu 0xfffe
	s_delay_alu instid0(VALU_DEP_1) | instskip(NEXT) | instid1(VALU_DEP_1)
	v_fma_f64 v[96:97], v[94:95], v[96:97], s[2:3]
	v_fma_f64 v[96:97], v[94:95], v[96:97], 1.0
	s_delay_alu instid0(VALU_DEP_1) | instskip(NEXT) | instid1(VALU_DEP_1)
	v_fma_f64 v[88:89], v[94:95], v[96:97], 1.0
	v_ldexp_f64 v[88:89], v[88:89], v18
	s_delay_alu instid0(VALU_DEP_1) | instskip(SKIP_1) | instid1(VALU_DEP_1)
	v_add_f64_e32 v[88:89], -1.0, v[88:89]
	s_wait_alu 0xfffd
	v_cndmask_b32_e32 v18, 0x7ff00000, v89, vcc_lo
	s_and_b32 vcc_lo, s0, vcc_lo
	s_wait_alu 0xfffe
	s_delay_alu instid0(VALU_DEP_2) | instskip(NEXT) | instid1(VALU_DEP_2)
	v_cndmask_b32_e32 v64, 0, v88, vcc_lo
	v_cndmask_b32_e64 v65, 0xbff00000, v18, s0
	s_delay_alu instid0(VALU_DEP_1) | instskip(NEXT) | instid1(VALU_DEP_1)
	v_mul_f64_e32 v[64:65], v[66:67], v[64:65]
	v_div_scale_f64 v[66:67], null, v[70:71], v[70:71], v[64:65]
	s_delay_alu instid0(VALU_DEP_1) | instskip(NEXT) | instid1(TRANS32_DEP_1)
	v_rcp_f64_e32 v[88:89], v[66:67]
	v_fma_f64 v[94:95], -v[66:67], v[88:89], 1.0
	s_delay_alu instid0(VALU_DEP_1) | instskip(NEXT) | instid1(VALU_DEP_1)
	v_fma_f64 v[88:89], v[88:89], v[94:95], v[88:89]
	v_fma_f64 v[94:95], -v[66:67], v[88:89], 1.0
	s_delay_alu instid0(VALU_DEP_1) | instskip(SKIP_1) | instid1(VALU_DEP_1)
	v_fma_f64 v[88:89], v[88:89], v[94:95], v[88:89]
	v_div_scale_f64 v[94:95], vcc_lo, v[64:65], v[70:71], v[64:65]
	v_mul_f64_e32 v[96:97], v[94:95], v[88:89]
	s_delay_alu instid0(VALU_DEP_1) | instskip(SKIP_1) | instid1(VALU_DEP_1)
	v_fma_f64 v[66:67], -v[66:67], v[96:97], v[94:95]
	s_wait_alu 0xfffd
	v_div_fmas_f64 v[66:67], v[66:67], v[88:89], v[96:97]
	s_delay_alu instid0(VALU_DEP_1)
	v_div_fixup_f64 v[64:65], v[66:67], v[70:71], v[64:65]
.LBB0_53:
	s_wait_alu 0xfffe
	s_or_b32 exec_lo, exec_lo, s1
	s_mov_b32 s0, 0xaaaaaaab
	s_mov_b32 s1, 0x400aaaaa
	;; [unrolled: 1-line block ×3, first 2 shown]
	s_wait_alu 0xfffe
	v_add_f64_e64 v[66:67], -v[166:167], s[0:1]
	s_mov_b32 s3, 0x3ff71547
	s_mov_b32 s4, 0xfefa39ef
	s_mov_b32 s5, 0xbfe62e42
	s_delay_alu instid0(VALU_DEP_2) | instskip(SKIP_1) | instid1(VALU_DEP_2)
	v_add_f64_e32 v[64:65], v[8:9], v[64:65]
	s_wait_alu 0xfffe
	v_mul_f64_e32 v[70:71], s[2:3], v[66:67]
	global_store_b64 v[146:147], v[64:65], off
                                        ; implicit-def: $vgpr64_vgpr65
	v_rndne_f64_e32 v[70:71], v[70:71]
	s_delay_alu instid0(VALU_DEP_1) | instskip(SKIP_1) | instid1(VALU_DEP_2)
	v_fma_f64 v[88:89], v[70:71], s[4:5], v[66:67]
	v_cvt_i32_f64_e32 v18, v[70:71]
	v_fma_f64 v[88:89], v[70:71], s[6:7], v[88:89]
	s_delay_alu instid0(VALU_DEP_1) | instskip(NEXT) | instid1(VALU_DEP_1)
	v_fma_f64 v[94:95], v[88:89], s[14:15], s[8:9]
	v_fma_f64 v[94:95], v[88:89], v[94:95], s[16:17]
	s_delay_alu instid0(VALU_DEP_1) | instskip(NEXT) | instid1(VALU_DEP_1)
	v_fma_f64 v[94:95], v[88:89], v[94:95], s[18:19]
	;; [unrolled: 3-line block ×5, first 2 shown]
	v_fma_f64 v[94:95], v[88:89], v[94:95], 1.0
	s_delay_alu instid0(VALU_DEP_1) | instskip(SKIP_1) | instid1(VALU_DEP_2)
	v_fma_f64 v[70:71], v[88:89], v[94:95], 1.0
	v_add_f64_e32 v[88:89], 0x40440000, v[2:3]
	v_ldexp_f64 v[70:71], v[70:71], v18
	s_delay_alu instid0(VALU_DEP_2) | instskip(NEXT) | instid1(VALU_DEP_2)
	v_mul_f64_e32 v[88:89], v[88:89], v[88:89]
	v_add_f64_e32 v[70:71], 1.0, v[70:71]
	s_delay_alu instid0(VALU_DEP_2) | instskip(NEXT) | instid1(VALU_DEP_2)
	v_div_scale_f64 v[96:97], null, 0xc09c2000, 0xc09c2000, v[88:89]
	v_div_scale_f64 v[94:95], null, v[70:71], v[70:71], 1.0
	s_delay_alu instid0(VALU_DEP_2) | instskip(SKIP_1) | instid1(VALU_DEP_2)
	v_rcp_f64_e32 v[164:165], v[96:97]
	v_div_scale_f64 v[170:171], vcc_lo, 1.0, v[70:71], 1.0
	v_rcp_f64_e32 v[162:163], v[94:95]
	s_delay_alu instid0(TRANS32_DEP_2) | instskip(NEXT) | instid1(TRANS32_DEP_1)
	v_fma_f64 v[168:169], -v[96:97], v[164:165], 1.0
	v_fma_f64 v[166:167], -v[94:95], v[162:163], 1.0
	s_delay_alu instid0(VALU_DEP_2) | instskip(NEXT) | instid1(VALU_DEP_2)
	v_fma_f64 v[164:165], v[164:165], v[168:169], v[164:165]
	v_fma_f64 v[162:163], v[162:163], v[166:167], v[162:163]
	s_delay_alu instid0(VALU_DEP_2) | instskip(NEXT) | instid1(VALU_DEP_2)
	v_fma_f64 v[168:169], -v[96:97], v[164:165], 1.0
	v_fma_f64 v[166:167], -v[94:95], v[162:163], 1.0
	s_delay_alu instid0(VALU_DEP_2) | instskip(NEXT) | instid1(VALU_DEP_2)
	v_fma_f64 v[164:165], v[164:165], v[168:169], v[164:165]
	v_fma_f64 v[162:163], v[162:163], v[166:167], v[162:163]
	v_div_scale_f64 v[166:167], s0, v[88:89], 0xc09c2000, v[88:89]
	s_delay_alu instid0(VALU_DEP_2) | instskip(NEXT) | instid1(VALU_DEP_2)
	v_mul_f64_e32 v[168:169], v[170:171], v[162:163]
	v_mul_f64_e32 v[172:173], v[166:167], v[164:165]
	s_delay_alu instid0(VALU_DEP_2) | instskip(NEXT) | instid1(VALU_DEP_2)
	v_fma_f64 v[94:95], -v[94:95], v[168:169], v[170:171]
	v_fma_f64 v[96:97], -v[96:97], v[172:173], v[166:167]
	s_wait_alu 0xfffd
	s_delay_alu instid0(VALU_DEP_2) | instskip(SKIP_3) | instid1(VALU_DEP_3)
	v_div_fmas_f64 v[94:95], v[94:95], v[162:163], v[168:169]
	s_mov_b32 vcc_lo, s0
	v_cmp_ngt_f64_e64 s0, 0xc090cc00, v[66:67]
	s_wait_alu 0xfffe
	v_div_fmas_f64 v[96:97], v[96:97], v[164:165], v[172:173]
	v_cmp_nlt_f64_e32 vcc_lo, 0x40900000, v[66:67]
	s_delay_alu instid0(VALU_DEP_4) | instskip(NEXT) | instid1(VALU_DEP_3)
	v_div_fixup_f64 v[70:71], v[94:95], v[70:71], 1.0
	v_div_fixup_f64 v[88:89], v[96:97], 0xc09c2000, v[88:89]
	s_delay_alu instid0(VALU_DEP_1) | instskip(SKIP_3) | instid1(VALU_DEP_2)
	v_mul_f64_e32 v[96:97], s[2:3], v[88:89]
	s_mov_b32 s2, 0x9999999a
	s_mov_b32 s3, 0x3fe99999
	v_cmp_nlt_f64_e64 s1, 0x40900000, v[88:89]
	v_rndne_f64_e32 v[96:97], v[96:97]
	s_delay_alu instid0(VALU_DEP_1) | instskip(SKIP_1) | instid1(VALU_DEP_2)
	v_fma_f64 v[162:163], v[96:97], s[4:5], v[88:89]
	v_cvt_i32_f64_e32 v18, v[96:97]
	v_fma_f64 v[162:163], v[96:97], s[6:7], v[162:163]
	s_delay_alu instid0(VALU_DEP_1) | instskip(NEXT) | instid1(VALU_DEP_1)
	v_fma_f64 v[164:165], v[162:163], s[14:15], s[8:9]
	v_fma_f64 v[164:165], v[162:163], v[164:165], s[16:17]
	s_delay_alu instid0(VALU_DEP_1) | instskip(NEXT) | instid1(VALU_DEP_1)
	v_fma_f64 v[164:165], v[162:163], v[164:165], s[18:19]
	;; [unrolled: 3-line block ×5, first 2 shown]
	v_fma_f64 v[164:165], v[162:163], v[164:165], 1.0
	s_delay_alu instid0(VALU_DEP_1) | instskip(NEXT) | instid1(VALU_DEP_1)
	v_fma_f64 v[96:97], v[162:163], v[164:165], 1.0
	v_ldexp_f64 v[94:95], v[96:97], v18
	s_wait_alu 0xfffd
	v_cndmask_b32_e32 v18, 0, v71, vcc_lo
	s_and_b32 vcc_lo, s0, vcc_lo
	s_wait_alu 0xfffe
	v_cndmask_b32_e32 v70, 0, v70, vcc_lo
	v_cmp_ngt_f64_e32 vcc_lo, 0xc090cc00, v[88:89]
	v_cndmask_b32_e64 v71, 0x3ff00000, v18, s0
	s_delay_alu instid0(VALU_DEP_1) | instskip(SKIP_1) | instid1(VALU_DEP_1)
	v_add_f64_e64 v[70:71], v[70:71], -v[42:43]
	v_fma_f64 v[66:67], 0x40230000, v[94:95], s[2:3]
	v_cndmask_b32_e64 v18, 0, v66, s1
	s_delay_alu instid0(VALU_DEP_2) | instskip(SKIP_1) | instid1(VALU_DEP_2)
	v_cndmask_b32_e64 v19, 0x7ff00000, v67, s1
	s_wait_alu 0xfffd
	v_cndmask_b32_e32 v88, 0x9999999a, v18, vcc_lo
	s_delay_alu instid0(VALU_DEP_2) | instskip(NEXT) | instid1(VALU_DEP_1)
	v_cndmask_b32_e32 v89, 0x3fe99999, v19, vcc_lo
	v_div_scale_f64 v[66:67], null, v[88:89], v[88:89], v[70:71]
	v_div_scale_f64 v[94:95], null, v[88:89], v[88:89], -1.0
	v_div_scale_f64 v[168:169], vcc_lo, v[70:71], v[88:89], v[70:71]
	s_delay_alu instid0(VALU_DEP_3) | instskip(NEXT) | instid1(VALU_DEP_2)
	v_rcp_f64_e32 v[96:97], v[66:67]
	v_rcp_f64_e32 v[162:163], v[94:95]
	s_delay_alu instid0(TRANS32_DEP_2) | instskip(NEXT) | instid1(TRANS32_DEP_1)
	v_fma_f64 v[164:165], -v[66:67], v[96:97], 1.0
	v_fma_f64 v[166:167], -v[94:95], v[162:163], 1.0
	s_delay_alu instid0(VALU_DEP_2) | instskip(NEXT) | instid1(VALU_DEP_2)
	v_fma_f64 v[96:97], v[96:97], v[164:165], v[96:97]
	v_fma_f64 v[162:163], v[162:163], v[166:167], v[162:163]
	s_delay_alu instid0(VALU_DEP_2) | instskip(NEXT) | instid1(VALU_DEP_2)
	v_fma_f64 v[164:165], -v[66:67], v[96:97], 1.0
	v_fma_f64 v[166:167], -v[94:95], v[162:163], 1.0
	s_delay_alu instid0(VALU_DEP_2) | instskip(SKIP_1) | instid1(VALU_DEP_3)
	v_fma_f64 v[96:97], v[96:97], v[164:165], v[96:97]
	v_div_scale_f64 v[164:165], s0, -1.0, v[88:89], -1.0
	v_fma_f64 v[162:163], v[162:163], v[166:167], v[162:163]
	s_delay_alu instid0(VALU_DEP_3) | instskip(NEXT) | instid1(VALU_DEP_2)
	v_mul_f64_e32 v[166:167], v[168:169], v[96:97]
	v_mul_f64_e32 v[170:171], v[164:165], v[162:163]
	s_delay_alu instid0(VALU_DEP_2) | instskip(NEXT) | instid1(VALU_DEP_2)
	v_fma_f64 v[66:67], -v[66:67], v[166:167], v[168:169]
	v_fma_f64 v[94:95], -v[94:95], v[170:171], v[164:165]
	s_wait_alu 0xfffd
	s_delay_alu instid0(VALU_DEP_2) | instskip(SKIP_3) | instid1(VALU_DEP_2)
	v_div_fmas_f64 v[96:97], v[66:67], v[96:97], v[166:167]
	s_mov_b32 vcc_lo, s0
	s_mov_b32 s0, 0xe2308c3a
	s_wait_alu 0xfffe
	v_div_fmas_f64 v[66:67], v[94:95], v[162:163], v[170:171]
	s_mov_b32 s1, 0x3e45798e
	s_delay_alu instid0(VALU_DEP_2) | instskip(NEXT) | instid1(VALU_DEP_2)
	v_div_fixup_f64 v[70:71], v[96:97], v[88:89], v[70:71]
	v_div_fixup_f64 v[66:67], v[66:67], v[88:89], -1.0
	s_wait_alu 0xfffe
	s_delay_alu instid0(VALU_DEP_1)
	v_cmp_ngt_f64_e64 s0, |v[66:67]|, s[0:1]
	s_and_saveexec_b32 s1, s0
	s_wait_alu 0xfffe
	s_xor_b32 s0, exec_lo, s1
	s_cbranch_execz .LBB0_55
; %bb.54:
	v_mul_f64_e32 v[64:65], s[12:13], v[70:71]
                                        ; implicit-def: $vgpr66_vgpr67
                                        ; implicit-def: $vgpr70_vgpr71
.LBB0_55:
	s_wait_alu 0xfffe
	s_and_not1_saveexec_b32 s1, s0
	s_cbranch_execz .LBB0_57
; %bb.56:
	v_mul_f64_e32 v[64:65], s[12:13], v[66:67]
	s_mov_b32 s2, 0x652b82fe
	s_mov_b32 s3, 0x3ff71547
	;; [unrolled: 1-line block ×4, first 2 shown]
	s_wait_alu 0xfffe
	s_delay_alu instid0(VALU_DEP_1) | instskip(SKIP_4) | instid1(VALU_DEP_3)
	v_mul_f64_e32 v[88:89], s[2:3], v[64:65]
	s_mov_b32 s2, 0xfefa39ef
	s_mov_b32 s3, 0xbfe62e42
	v_cmp_nlt_f64_e32 vcc_lo, 0x40900000, v[64:65]
	v_cmp_ngt_f64_e64 s0, 0xc090cc00, v[64:65]
	v_rndne_f64_e32 v[88:89], v[88:89]
	s_wait_alu 0xfffe
	s_delay_alu instid0(VALU_DEP_1) | instskip(SKIP_4) | instid1(VALU_DEP_2)
	v_fma_f64 v[94:95], v[88:89], s[2:3], v[64:65]
	s_mov_b32 s2, 0x3b39803f
	s_mov_b32 s3, 0xbc7abc9e
	v_cvt_i32_f64_e32 v18, v[88:89]
	s_wait_alu 0xfffe
	v_fma_f64 v[94:95], v[88:89], s[2:3], v[94:95]
	s_mov_b32 s2, 0xfca7ab0c
	s_mov_b32 s3, 0x3e928af3
	s_wait_alu 0xfffe
	s_delay_alu instid0(VALU_DEP_1) | instskip(SKIP_3) | instid1(VALU_DEP_1)
	v_fma_f64 v[96:97], v[94:95], s[4:5], s[2:3]
	s_mov_b32 s2, 0x623fde64
	s_mov_b32 s3, 0x3ec71dee
	s_wait_alu 0xfffe
	v_fma_f64 v[96:97], v[94:95], v[96:97], s[2:3]
	s_mov_b32 s2, 0x7c89e6b0
	s_mov_b32 s3, 0x3efa0199
	s_wait_alu 0xfffe
	s_delay_alu instid0(VALU_DEP_1) | instskip(SKIP_3) | instid1(VALU_DEP_1)
	v_fma_f64 v[96:97], v[94:95], v[96:97], s[2:3]
	s_mov_b32 s2, 0x14761f6e
	s_mov_b32 s3, 0x3f2a01a0
	;; [unrolled: 9-line block ×4, first 2 shown]
	s_wait_alu 0xfffe
	v_fma_f64 v[96:97], v[94:95], v[96:97], s[2:3]
	s_mov_b32 s2, 11
	s_mov_b32 s3, 0x3fe00000
	s_wait_alu 0xfffe
	s_delay_alu instid0(VALU_DEP_1) | instskip(NEXT) | instid1(VALU_DEP_1)
	v_fma_f64 v[96:97], v[94:95], v[96:97], s[2:3]
	v_fma_f64 v[96:97], v[94:95], v[96:97], 1.0
	s_delay_alu instid0(VALU_DEP_1) | instskip(NEXT) | instid1(VALU_DEP_1)
	v_fma_f64 v[88:89], v[94:95], v[96:97], 1.0
	v_ldexp_f64 v[88:89], v[88:89], v18
	s_delay_alu instid0(VALU_DEP_1) | instskip(SKIP_1) | instid1(VALU_DEP_1)
	v_add_f64_e32 v[88:89], -1.0, v[88:89]
	s_wait_alu 0xfffd
	v_cndmask_b32_e32 v18, 0x7ff00000, v89, vcc_lo
	s_and_b32 vcc_lo, s0, vcc_lo
	s_wait_alu 0xfffe
	s_delay_alu instid0(VALU_DEP_2) | instskip(NEXT) | instid1(VALU_DEP_2)
	v_cndmask_b32_e32 v64, 0, v88, vcc_lo
	v_cndmask_b32_e64 v65, 0xbff00000, v18, s0
	s_delay_alu instid0(VALU_DEP_1) | instskip(NEXT) | instid1(VALU_DEP_1)
	v_mul_f64_e32 v[64:65], v[70:71], v[64:65]
	v_div_scale_f64 v[70:71], null, v[66:67], v[66:67], v[64:65]
	s_delay_alu instid0(VALU_DEP_1) | instskip(NEXT) | instid1(TRANS32_DEP_1)
	v_rcp_f64_e32 v[88:89], v[70:71]
	v_fma_f64 v[94:95], -v[70:71], v[88:89], 1.0
	s_delay_alu instid0(VALU_DEP_1) | instskip(NEXT) | instid1(VALU_DEP_1)
	v_fma_f64 v[88:89], v[88:89], v[94:95], v[88:89]
	v_fma_f64 v[94:95], -v[70:71], v[88:89], 1.0
	s_delay_alu instid0(VALU_DEP_1) | instskip(SKIP_1) | instid1(VALU_DEP_1)
	v_fma_f64 v[88:89], v[88:89], v[94:95], v[88:89]
	v_div_scale_f64 v[94:95], vcc_lo, v[64:65], v[66:67], v[64:65]
	v_mul_f64_e32 v[96:97], v[94:95], v[88:89]
	s_delay_alu instid0(VALU_DEP_1) | instskip(SKIP_1) | instid1(VALU_DEP_1)
	v_fma_f64 v[70:71], -v[70:71], v[96:97], v[94:95]
	s_wait_alu 0xfffd
	v_div_fmas_f64 v[70:71], v[70:71], v[88:89], v[96:97]
	s_delay_alu instid0(VALU_DEP_1)
	v_div_fixup_f64 v[64:65], v[70:71], v[66:67], v[64:65]
.LBB0_57:
	s_wait_alu 0xfffe
	s_or_b32 exec_lo, exec_lo, s1
	v_mul_f64_e32 v[66:67], 0.5, v[60:61]
	s_mov_b32 s1, 0x3fe55555
	s_mov_b32 s0, 0x55555555
	;; [unrolled: 1-line block ×6, first 2 shown]
	scratch_load_b64 v[140:141], off, off   ; 8-byte Folded Reload
	v_mul_f64_e32 v[146:147], v[60:61], v[62:63]
	s_mov_b32 s6, 0x652b82fe
	s_mov_b32 s7, 0x3ff71547
	v_add_f64_e32 v[64:65], v[42:43], v[64:65]
	v_mul_f64_e32 v[182:183], v[26:27], v[26:27]
	v_add_f64_e32 v[158:159], v[158:159], v[38:39]
	v_mul_f64_e32 v[98:99], v[154:155], v[154:155]
	v_add_f64_e32 v[44:45], v[40:41], v[150:151]
	v_add_f64_e64 v[190:191], v[114:115], -v[40:41]
	v_add_f64_e32 v[184:185], v[16:17], v[16:17]
	v_add_f64_e64 v[154:155], v[58:59], -v[40:41]
	v_dual_mov_b32 v24, v30 :: v_dual_mov_b32 v25, v31
	v_mul_f64_e32 v[186:187], v[66:67], v[62:63]
	v_div_scale_f64 v[66:67], null, v[40:41], v[40:41], v[38:39]
	global_store_b64 v[160:161], v[64:65], off
	v_mul_f64_e32 v[160:161], v[26:27], v[182:183]
	v_mul_f64_e32 v[68:69], v[44:45], v[44:45]
	v_rcp_f64_e32 v[70:71], v[66:67]
	s_delay_alu instid0(VALU_DEP_2) | instskip(NEXT) | instid1(VALU_DEP_2)
	v_mul_f64_e32 v[64:65], v[160:161], v[38:39]
	v_mul_f64_e32 v[44:45], v[44:45], v[68:69]
	s_delay_alu instid0(TRANS32_DEP_1) | instskip(NEXT) | instid1(VALU_DEP_1)
	v_fma_f64 v[88:89], -v[66:67], v[70:71], 1.0
	v_fma_f64 v[70:71], v[70:71], v[88:89], v[70:71]
	s_delay_alu instid0(VALU_DEP_1) | instskip(NEXT) | instid1(VALU_DEP_1)
	v_fma_f64 v[88:89], -v[66:67], v[70:71], 1.0
	v_fma_f64 v[70:71], v[70:71], v[88:89], v[70:71]
	v_div_scale_f64 v[88:89], vcc_lo, v[38:39], v[40:41], v[38:39]
	s_delay_alu instid0(VALU_DEP_1) | instskip(NEXT) | instid1(VALU_DEP_1)
	v_mul_f64_e32 v[94:95], v[88:89], v[70:71]
	v_fma_f64 v[66:67], -v[66:67], v[94:95], v[88:89]
	s_wait_alu 0xfffd
	s_delay_alu instid0(VALU_DEP_1) | instskip(NEXT) | instid1(VALU_DEP_1)
	v_div_fmas_f64 v[66:67], v[66:67], v[70:71], v[94:95]
	v_div_fixup_f64 v[66:67], v[66:67], v[40:41], v[38:39]
	s_delay_alu instid0(VALU_DEP_1) | instskip(SKIP_2) | instid1(VALU_DEP_2)
	v_frexp_mant_f64_e32 v[70:71], v[66:67]
	v_frexp_exp_i32_f64_e32 v18, v[66:67]
	s_wait_alu 0xfffe
	v_cmp_gt_f64_e32 vcc_lo, s[0:1], v[70:71]
	s_mov_b32 s0, 0x55555780
	s_wait_alu 0xfffd
	v_cndmask_b32_e64 v19, 0, 1, vcc_lo
	s_delay_alu instid0(VALU_DEP_3) | instskip(SKIP_1) | instid1(VALU_DEP_3)
	v_subrev_co_ci_u32_e64 v18, null, 0, v18, vcc_lo
	v_cmp_class_f64_e64 vcc_lo, v[66:67], 0x204
	v_ldexp_f64 v[70:71], v[70:71], v19
	s_delay_alu instid0(VALU_DEP_1) | instskip(SKIP_1) | instid1(VALU_DEP_2)
	v_add_f64_e32 v[94:95], 1.0, v[70:71]
	v_add_f64_e32 v[88:89], -1.0, v[70:71]
	v_add_f64_e32 v[96:97], -1.0, v[94:95]
	s_delay_alu instid0(VALU_DEP_1) | instskip(SKIP_1) | instid1(TRANS32_DEP_1)
	v_add_f64_e64 v[70:71], v[70:71], -v[96:97]
	v_rcp_f64_e32 v[96:97], v[94:95]
	v_fma_f64 v[162:163], -v[94:95], v[96:97], 1.0
	s_delay_alu instid0(VALU_DEP_1) | instskip(NEXT) | instid1(VALU_DEP_1)
	v_fma_f64 v[96:97], v[162:163], v[96:97], v[96:97]
	v_fma_f64 v[162:163], -v[94:95], v[96:97], 1.0
	s_delay_alu instid0(VALU_DEP_1) | instskip(NEXT) | instid1(VALU_DEP_1)
	v_fma_f64 v[96:97], v[162:163], v[96:97], v[96:97]
	v_mul_f64_e32 v[162:163], v[88:89], v[96:97]
	s_delay_alu instid0(VALU_DEP_1) | instskip(NEXT) | instid1(VALU_DEP_1)
	v_mul_f64_e32 v[164:165], v[94:95], v[162:163]
	v_fma_f64 v[94:95], v[162:163], v[94:95], -v[164:165]
	s_delay_alu instid0(VALU_DEP_1) | instskip(NEXT) | instid1(VALU_DEP_1)
	v_fma_f64 v[70:71], v[162:163], v[70:71], v[94:95]
	v_add_f64_e32 v[94:95], v[164:165], v[70:71]
	s_delay_alu instid0(VALU_DEP_1) | instskip(SKIP_1) | instid1(VALU_DEP_2)
	v_add_f64_e64 v[166:167], v[88:89], -v[94:95]
	v_add_f64_e64 v[164:165], v[94:95], -v[164:165]
	;; [unrolled: 1-line block ×3, first 2 shown]
	s_delay_alu instid0(VALU_DEP_2) | instskip(NEXT) | instid1(VALU_DEP_2)
	v_add_f64_e64 v[70:71], v[164:165], -v[70:71]
	v_add_f64_e64 v[88:89], v[88:89], -v[94:95]
	s_delay_alu instid0(VALU_DEP_1) | instskip(NEXT) | instid1(VALU_DEP_1)
	v_add_f64_e32 v[70:71], v[70:71], v[88:89]
	v_add_f64_e32 v[70:71], v[166:167], v[70:71]
	s_delay_alu instid0(VALU_DEP_1) | instskip(NEXT) | instid1(VALU_DEP_1)
	v_mul_f64_e32 v[70:71], v[96:97], v[70:71]
	v_add_f64_e32 v[88:89], v[162:163], v[70:71]
	s_delay_alu instid0(VALU_DEP_1) | instskip(SKIP_1) | instid1(VALU_DEP_2)
	v_add_f64_e64 v[94:95], v[88:89], -v[162:163]
	v_ldexp_f64 v[162:163], v[88:89], 1
	v_add_f64_e64 v[70:71], v[70:71], -v[94:95]
	v_mul_f64_e32 v[94:95], v[88:89], v[88:89]
	s_delay_alu instid0(VALU_DEP_2) | instskip(NEXT) | instid1(VALU_DEP_2)
	v_ldexp_f64 v[70:71], v[70:71], 1
	v_fma_f64 v[96:97], v[94:95], s[4:5], s[2:3]
	s_mov_b32 s2, 0xd7f4df2e
	s_mov_b32 s3, 0x3fc7474d
	v_mul_f64_e32 v[88:89], v[88:89], v[94:95]
	s_mov_b32 s5, 0x3c7abc9e
	s_mov_b32 s4, 0x3b39803f
	s_wait_alu 0xfffe
	s_delay_alu instid0(VALU_DEP_2) | instskip(SKIP_3) | instid1(VALU_DEP_1)
	v_fma_f64 v[96:97], v[94:95], v[96:97], s[2:3]
	s_mov_b32 s2, 0x16291751
	s_mov_b32 s3, 0x3fcc71c0
	s_wait_alu 0xfffe
	v_fma_f64 v[96:97], v[94:95], v[96:97], s[2:3]
	s_mov_b32 s2, 0x9b27acf1
	s_mov_b32 s3, 0x3fd24924
	s_wait_alu 0xfffe
	s_delay_alu instid0(VALU_DEP_1) | instskip(SKIP_3) | instid1(VALU_DEP_1)
	v_fma_f64 v[96:97], v[94:95], v[96:97], s[2:3]
	s_mov_b32 s2, 0x998ef7b6
	s_mov_b32 s3, 0x3fd99999
	s_wait_alu 0xfffe
	v_fma_f64 v[96:97], v[94:95], v[96:97], s[2:3]
	s_mov_b32 s3, 0x3fe62e42
	s_mov_b32 s2, 0xfefa39ef
	s_delay_alu instid0(VALU_DEP_1) | instskip(NEXT) | instid1(VALU_DEP_1)
	v_fma_f64 v[96:97], v[94:95], v[96:97], s[0:1]
	v_mul_f64_e32 v[88:89], v[88:89], v[96:97]
	s_delay_alu instid0(VALU_DEP_1) | instskip(NEXT) | instid1(VALU_DEP_1)
	v_add_f64_e32 v[94:95], v[162:163], v[88:89]
	v_add_f64_e64 v[96:97], v[94:95], -v[162:163]
	s_delay_alu instid0(VALU_DEP_1) | instskip(NEXT) | instid1(VALU_DEP_1)
	v_add_f64_e64 v[88:89], v[88:89], -v[96:97]
	v_add_f64_e32 v[70:71], v[70:71], v[88:89]
	s_delay_alu instid0(VALU_DEP_1) | instskip(NEXT) | instid1(VALU_DEP_1)
	v_add_f64_e32 v[88:89], v[94:95], v[70:71]
	v_add_f64_e64 v[94:95], v[88:89], -v[94:95]
	s_delay_alu instid0(VALU_DEP_1) | instskip(SKIP_2) | instid1(VALU_DEP_1)
	v_add_f64_e64 v[70:71], v[70:71], -v[94:95]
	v_cvt_f64_i32_e32 v[94:95], v18
	s_wait_alu 0xfffe
	v_mul_f64_e32 v[96:97], s[2:3], v[94:95]
	s_delay_alu instid0(VALU_DEP_1) | instskip(SKIP_1) | instid1(VALU_DEP_1)
	v_fma_f64 v[162:163], v[94:95], s[2:3], -v[96:97]
	s_mov_b32 s3, 0xbfe62e42
	v_fma_f64 v[94:95], v[94:95], s[4:5], v[162:163]
	s_mov_b32 s5, 0xbc7abc9e
	s_delay_alu instid0(VALU_DEP_1) | instskip(NEXT) | instid1(VALU_DEP_1)
	v_add_f64_e32 v[162:163], v[96:97], v[94:95]
	v_add_f64_e64 v[96:97], v[162:163], -v[96:97]
	s_delay_alu instid0(VALU_DEP_1) | instskip(SKIP_1) | instid1(VALU_DEP_1)
	v_add_f64_e64 v[94:95], v[94:95], -v[96:97]
	v_add_f64_e32 v[96:97], v[162:163], v[88:89]
	v_add_f64_e64 v[164:165], v[96:97], -v[162:163]
	s_delay_alu instid0(VALU_DEP_1) | instskip(SKIP_1) | instid1(VALU_DEP_2)
	v_add_f64_e64 v[166:167], v[96:97], -v[164:165]
	v_add_f64_e64 v[88:89], v[88:89], -v[164:165]
	v_add_f64_e64 v[162:163], v[162:163], -v[166:167]
	s_delay_alu instid0(VALU_DEP_1) | instskip(SKIP_1) | instid1(VALU_DEP_1)
	v_add_f64_e32 v[88:89], v[88:89], v[162:163]
	v_add_f64_e32 v[162:163], v[94:95], v[70:71]
	v_add_f64_e64 v[164:165], v[162:163], -v[94:95]
	s_delay_alu instid0(VALU_DEP_3) | instskip(NEXT) | instid1(VALU_DEP_2)
	v_add_f64_e32 v[88:89], v[162:163], v[88:89]
	v_add_f64_e64 v[166:167], v[162:163], -v[164:165]
	v_add_f64_e64 v[70:71], v[70:71], -v[164:165]
	s_delay_alu instid0(VALU_DEP_2) | instskip(SKIP_1) | instid1(VALU_DEP_2)
	v_add_f64_e64 v[94:95], v[94:95], -v[166:167]
	v_add_f64_e32 v[166:167], -1.0, v[36:37]
	v_add_f64_e32 v[70:71], v[70:71], v[94:95]
	v_add_f64_e32 v[94:95], v[96:97], v[88:89]
	s_delay_alu instid0(VALU_DEP_1) | instskip(NEXT) | instid1(VALU_DEP_1)
	v_add_f64_e64 v[96:97], v[94:95], -v[96:97]
	v_add_f64_e64 v[88:89], v[88:89], -v[96:97]
	s_delay_alu instid0(VALU_DEP_1) | instskip(NEXT) | instid1(VALU_DEP_1)
	v_add_f64_e32 v[70:71], v[70:71], v[88:89]
	v_add_f64_e32 v[70:71], v[94:95], v[70:71]
	s_wait_alu 0xfffd
	s_delay_alu instid0(VALU_DEP_1) | instskip(NEXT) | instid1(VALU_DEP_2)
	v_cndmask_b32_e32 v18, v70, v66, vcc_lo
	v_cndmask_b32_e64 v19, -v71, -v67, vcc_lo
	v_cmp_ngt_f64_e32 vcc_lo, 0, v[66:67]
	s_wait_alu 0xfffd
	s_delay_alu instid0(VALU_DEP_2)
	v_cndmask_b32_e32 v19, 0xfff80000, v19, vcc_lo
	v_cmp_nge_f64_e32 vcc_lo, 0, v[66:67]
	s_wait_alu 0xfffd
	v_cndmask_b32_e32 v70, 0, v18, vcc_lo
	v_cmp_neq_f64_e32 vcc_lo, 0, v[66:67]
	s_wait_alu 0xfffd
	v_cndmask_b32_e32 v71, 0x7ff00000, v19, vcc_lo
	s_delay_alu instid0(VALU_DEP_1) | instskip(NEXT) | instid1(VALU_DEP_1)
	v_mul_f64_e32 v[66:67], v[186:187], v[70:71]
	v_div_scale_f64 v[70:71], null, v[16:17], v[16:17], v[66:67]
	s_delay_alu instid0(VALU_DEP_1) | instskip(NEXT) | instid1(TRANS32_DEP_1)
	v_rcp_f64_e32 v[88:89], v[70:71]
	v_fma_f64 v[94:95], -v[70:71], v[88:89], 1.0
	s_delay_alu instid0(VALU_DEP_1) | instskip(NEXT) | instid1(VALU_DEP_1)
	v_fma_f64 v[88:89], v[88:89], v[94:95], v[88:89]
	v_fma_f64 v[94:95], -v[70:71], v[88:89], 1.0
	s_delay_alu instid0(VALU_DEP_1) | instskip(SKIP_1) | instid1(VALU_DEP_1)
	v_fma_f64 v[88:89], v[88:89], v[94:95], v[88:89]
	v_div_scale_f64 v[94:95], vcc_lo, v[66:67], v[16:17], v[66:67]
	v_mul_f64_e32 v[96:97], v[94:95], v[88:89]
	s_delay_alu instid0(VALU_DEP_1) | instskip(SKIP_1) | instid1(VALU_DEP_1)
	v_fma_f64 v[70:71], -v[70:71], v[96:97], v[94:95]
	s_wait_alu 0xfffd
	v_div_fmas_f64 v[70:71], v[70:71], v[88:89], v[96:97]
	s_delay_alu instid0(VALU_DEP_1) | instskip(NEXT) | instid1(VALU_DEP_1)
	v_div_fixup_f64 v[66:67], v[70:71], v[16:17], v[66:67]
	v_add_f64_e32 v[66:67], v[2:3], v[66:67]
	s_wait_loadcnt 0x0
	s_delay_alu instid0(VALU_DEP_1) | instskip(SKIP_1) | instid1(VALU_DEP_1)
	v_mul_f64_e32 v[176:177], v[140:141], v[66:67]
	v_mul_f64_e32 v[66:67], v[36:37], v[16:17]
	;; [unrolled: 1-line block ×3, first 2 shown]
	s_delay_alu instid0(VALU_DEP_1) | instskip(NEXT) | instid1(VALU_DEP_1)
	v_div_scale_f64 v[70:71], null, v[146:147], v[146:147], v[66:67]
	v_rcp_f64_e32 v[88:89], v[70:71]
	s_delay_alu instid0(TRANS32_DEP_1) | instskip(NEXT) | instid1(VALU_DEP_1)
	v_fma_f64 v[94:95], -v[70:71], v[88:89], 1.0
	v_fma_f64 v[88:89], v[88:89], v[94:95], v[88:89]
	s_delay_alu instid0(VALU_DEP_1) | instskip(NEXT) | instid1(VALU_DEP_1)
	v_fma_f64 v[94:95], -v[70:71], v[88:89], 1.0
	v_fma_f64 v[88:89], v[88:89], v[94:95], v[88:89]
	v_div_scale_f64 v[94:95], vcc_lo, v[66:67], v[146:147], v[66:67]
	s_delay_alu instid0(VALU_DEP_1) | instskip(NEXT) | instid1(VALU_DEP_1)
	v_mul_f64_e32 v[96:97], v[94:95], v[88:89]
	v_fma_f64 v[70:71], -v[70:71], v[96:97], v[94:95]
	s_wait_alu 0xfffd
	s_delay_alu instid0(VALU_DEP_1) | instskip(NEXT) | instid1(VALU_DEP_1)
	v_div_fmas_f64 v[70:71], v[70:71], v[88:89], v[96:97]
	v_div_fixup_f64 v[66:67], v[70:71], v[146:147], v[66:67]
	s_delay_alu instid0(VALU_DEP_1) | instskip(SKIP_2) | instid1(VALU_DEP_3)
	v_mul_f64_e32 v[70:71], s[6:7], v[66:67]
	v_cmp_nlt_f64_e32 vcc_lo, 0x40900000, v[66:67]
	v_cmp_ngt_f64_e64 s0, 0xc090cc00, v[66:67]
	v_rndne_f64_e32 v[70:71], v[70:71]
	s_wait_alu 0xfffe
	s_delay_alu instid0(VALU_DEP_1) | instskip(SKIP_2) | instid1(VALU_DEP_3)
	v_fma_f64 v[88:89], v[70:71], s[2:3], v[66:67]
	v_cvt_i32_f64_e32 v18, v[70:71]
	v_mul_f64_e32 v[66:67], v[82:83], v[82:83]
	v_fma_f64 v[88:89], v[70:71], s[4:5], v[88:89]
	s_delay_alu instid0(VALU_DEP_2) | instskip(NEXT) | instid1(VALU_DEP_2)
	v_mul_f64_e32 v[162:163], v[82:83], v[66:67]
	v_fma_f64 v[94:95], v[88:89], s[14:15], s[8:9]
	s_delay_alu instid0(VALU_DEP_2) | instskip(NEXT) | instid1(VALU_DEP_2)
	;; [unrolled: 3-line block ×3, first 2 shown]
	v_mul_f64_e32 v[66:67], v[40:41], v[66:67]
	v_fma_f64 v[94:95], v[88:89], v[94:95], s[18:19]
	s_delay_alu instid0(VALU_DEP_1) | instskip(NEXT) | instid1(VALU_DEP_1)
	v_fma_f64 v[94:95], v[88:89], v[94:95], s[20:21]
	v_fma_f64 v[94:95], v[88:89], v[94:95], s[22:23]
	s_delay_alu instid0(VALU_DEP_1) | instskip(NEXT) | instid1(VALU_DEP_1)
	v_fma_f64 v[94:95], v[88:89], v[94:95], s[24:25]
	;; [unrolled: 3-line block ×3, first 2 shown]
	v_fma_f64 v[94:95], v[88:89], v[94:95], s[30:31]
	s_delay_alu instid0(VALU_DEP_1) | instskip(NEXT) | instid1(VALU_DEP_1)
	v_fma_f64 v[94:95], v[88:89], v[94:95], 1.0
	v_fma_f64 v[88:89], v[88:89], v[94:95], 1.0
	s_delay_alu instid0(VALU_DEP_1) | instskip(SKIP_1) | instid1(VALU_DEP_1)
	v_ldexp_f64 v[70:71], v[88:89], v18
	s_wait_alu 0xfffd
	v_cndmask_b32_e32 v18, 0x7ff00000, v71, vcc_lo
	s_and_b32 vcc_lo, s0, vcc_lo
	s_wait_alu 0xfffe
	s_delay_alu instid0(VALU_DEP_2) | instskip(SKIP_2) | instid1(VALU_DEP_2)
	v_cndmask_b32_e32 v164, 0, v70, vcc_lo
	v_mul_f64_e32 v[70:71], v[166:167], v[16:17]
	v_cndmask_b32_e64 v165, 0, v18, s0
	v_mul_f64_e32 v[70:71], v[2:3], v[70:71]
	s_delay_alu instid0(VALU_DEP_1) | instskip(NEXT) | instid1(VALU_DEP_1)
	v_div_scale_f64 v[88:89], null, v[146:147], v[146:147], v[70:71]
	v_rcp_f64_e32 v[94:95], v[88:89]
	s_delay_alu instid0(TRANS32_DEP_1) | instskip(NEXT) | instid1(VALU_DEP_1)
	v_fma_f64 v[96:97], -v[88:89], v[94:95], 1.0
	v_fma_f64 v[94:95], v[94:95], v[96:97], v[94:95]
	s_delay_alu instid0(VALU_DEP_1) | instskip(NEXT) | instid1(VALU_DEP_1)
	v_fma_f64 v[96:97], -v[88:89], v[94:95], 1.0
	v_fma_f64 v[94:95], v[94:95], v[96:97], v[94:95]
	v_div_scale_f64 v[96:97], vcc_lo, v[70:71], v[146:147], v[70:71]
	s_delay_alu instid0(VALU_DEP_1) | instskip(NEXT) | instid1(VALU_DEP_1)
	v_mul_f64_e32 v[168:169], v[96:97], v[94:95]
	v_fma_f64 v[88:89], -v[88:89], v[168:169], v[96:97]
	s_wait_alu 0xfffd
	s_delay_alu instid0(VALU_DEP_1) | instskip(NEXT) | instid1(VALU_DEP_1)
	v_div_fmas_f64 v[88:89], v[88:89], v[94:95], v[168:169]
	v_div_fixup_f64 v[70:71], v[88:89], v[146:147], v[70:71]
	s_delay_alu instid0(VALU_DEP_1) | instskip(SKIP_2) | instid1(VALU_DEP_3)
	v_mul_f64_e32 v[88:89], s[6:7], v[70:71]
	v_cmp_nlt_f64_e32 vcc_lo, 0x40900000, v[70:71]
	v_cmp_ngt_f64_e64 s0, 0xc090cc00, v[70:71]
	v_rndne_f64_e32 v[88:89], v[88:89]
	s_delay_alu instid0(VALU_DEP_1) | instskip(SKIP_2) | instid1(VALU_DEP_3)
	v_fma_f64 v[94:95], v[88:89], s[2:3], v[70:71]
	v_cvt_i32_f64_e32 v18, v[88:89]
	v_mul_f64_e32 v[70:71], v[156:157], v[156:157]
	v_fma_f64 v[94:95], v[88:89], s[4:5], v[94:95]
	s_delay_alu instid0(VALU_DEP_2) | instskip(NEXT) | instid1(VALU_DEP_2)
	v_fma_f64 v[156:157], v[156:157], v[70:71], v[162:163]
	v_fma_f64 v[96:97], v[94:95], s[14:15], s[8:9]
	s_delay_alu instid0(VALU_DEP_1) | instskip(NEXT) | instid1(VALU_DEP_1)
	v_fma_f64 v[96:97], v[94:95], v[96:97], s[16:17]
	v_fma_f64 v[96:97], v[94:95], v[96:97], s[18:19]
	s_delay_alu instid0(VALU_DEP_1) | instskip(NEXT) | instid1(VALU_DEP_1)
	;; [unrolled: 3-line block ×5, first 2 shown]
	v_fma_f64 v[96:97], v[94:95], v[96:97], 1.0
	v_fma_f64 v[94:95], v[94:95], v[96:97], 1.0
	v_add_f64_e32 v[96:97], v[40:41], v[152:153]
	s_delay_alu instid0(VALU_DEP_2) | instskip(SKIP_1) | instid1(VALU_DEP_1)
	v_ldexp_f64 v[88:89], v[94:95], v18
	s_wait_alu 0xfffd
	v_cndmask_b32_e32 v18, 0x7ff00000, v89, vcc_lo
	s_and_b32 vcc_lo, s0, vcc_lo
	s_wait_alu 0xfffe
	s_delay_alu instid0(VALU_DEP_2) | instskip(NEXT) | instid1(VALU_DEP_2)
	v_cndmask_b32_e32 v170, 0, v88, vcc_lo
	v_cndmask_b32_e64 v171, 0, v18, s0
	v_mul_f64_e32 v[18:19], v[40:41], v[40:41]
	s_mov_b32 s0, 0xe2308c3a
	s_mov_b32 s1, 0x3e45798e
	s_delay_alu instid0(VALU_DEP_2) | instskip(SKIP_1) | instid1(VALU_DEP_2)
	v_mul_f64_e32 v[66:67], v[66:67], v[170:171]
	v_fma_f64 v[168:169], v[30:31], v[170:171], 1.0
	v_fma_f64 v[172:173], v[64:65], v[164:165], -v[66:67]
	s_delay_alu instid0(VALU_DEP_2) | instskip(NEXT) | instid1(VALU_DEP_2)
	v_mul_f64_e32 v[66:67], v[158:159], v[168:169]
	v_mul_f64_e32 v[64:65], v[28:29], v[172:173]
	s_delay_alu instid0(VALU_DEP_2) | instskip(NEXT) | instid1(VALU_DEP_1)
	v_mul_f64_e32 v[174:175], v[156:157], v[66:67]
	v_div_scale_f64 v[66:67], null, v[174:175], v[174:175], v[64:65]
	s_delay_alu instid0(VALU_DEP_1) | instskip(NEXT) | instid1(TRANS32_DEP_1)
	v_rcp_f64_e32 v[70:71], v[66:67]
	v_fma_f64 v[88:89], -v[66:67], v[70:71], 1.0
	s_delay_alu instid0(VALU_DEP_1) | instskip(NEXT) | instid1(VALU_DEP_1)
	v_fma_f64 v[70:71], v[70:71], v[88:89], v[70:71]
	v_fma_f64 v[88:89], -v[66:67], v[70:71], 1.0
	s_delay_alu instid0(VALU_DEP_1) | instskip(SKIP_1) | instid1(VALU_DEP_1)
	v_fma_f64 v[70:71], v[70:71], v[88:89], v[70:71]
	v_div_scale_f64 v[88:89], vcc_lo, v[64:65], v[174:175], v[64:65]
	v_mul_f64_e32 v[94:95], v[88:89], v[70:71]
	s_delay_alu instid0(VALU_DEP_1) | instskip(SKIP_1) | instid1(VALU_DEP_1)
	v_fma_f64 v[66:67], -v[66:67], v[94:95], v[88:89]
	s_wait_alu 0xfffd
	v_div_fmas_f64 v[66:67], v[66:67], v[70:71], v[94:95]
	v_mul_f64_e32 v[70:71], v[40:41], v[142:143]
	s_delay_alu instid0(VALU_DEP_2) | instskip(NEXT) | instid1(VALU_DEP_2)
	v_div_fixup_f64 v[178:179], v[66:67], v[174:175], v[64:65]
	v_div_scale_f64 v[64:65], null, v[96:97], v[96:97], v[70:71]
	s_delay_alu instid0(VALU_DEP_1) | instskip(NEXT) | instid1(TRANS32_DEP_1)
	v_rcp_f64_e32 v[66:67], v[64:65]
	v_fma_f64 v[88:89], -v[64:65], v[66:67], 1.0
	s_delay_alu instid0(VALU_DEP_1) | instskip(NEXT) | instid1(VALU_DEP_1)
	v_fma_f64 v[66:67], v[66:67], v[88:89], v[66:67]
	v_fma_f64 v[88:89], -v[64:65], v[66:67], 1.0
	s_delay_alu instid0(VALU_DEP_1) | instskip(SKIP_1) | instid1(VALU_DEP_1)
	v_fma_f64 v[66:67], v[66:67], v[88:89], v[66:67]
	v_div_scale_f64 v[88:89], vcc_lo, v[70:71], v[96:97], v[70:71]
	v_mul_f64_e32 v[94:95], v[88:89], v[66:67]
	s_delay_alu instid0(VALU_DEP_1) | instskip(SKIP_1) | instid1(VALU_DEP_1)
	v_fma_f64 v[64:65], -v[64:65], v[94:95], v[88:89]
	s_wait_alu 0xfffd
	v_div_fmas_f64 v[64:65], v[64:65], v[66:67], v[94:95]
	s_delay_alu instid0(VALU_DEP_1) | instskip(SKIP_1) | instid1(VALU_DEP_1)
	v_div_fixup_f64 v[152:153], v[64:65], v[96:97], v[70:71]
	v_div_scale_f64 v[64:65], null, v[18:19], v[18:19], v[98:99]
	v_rcp_f64_e32 v[66:67], v[64:65]
	s_delay_alu instid0(TRANS32_DEP_1) | instskip(NEXT) | instid1(VALU_DEP_1)
	v_fma_f64 v[88:89], -v[64:65], v[66:67], 1.0
	v_fma_f64 v[66:67], v[66:67], v[88:89], v[66:67]
	s_delay_alu instid0(VALU_DEP_1) | instskip(NEXT) | instid1(VALU_DEP_1)
	v_fma_f64 v[88:89], -v[64:65], v[66:67], 1.0
	v_fma_f64 v[66:67], v[66:67], v[88:89], v[66:67]
	v_div_scale_f64 v[88:89], vcc_lo, v[98:99], v[18:19], v[98:99]
	s_delay_alu instid0(VALU_DEP_1) | instskip(NEXT) | instid1(VALU_DEP_1)
	v_mul_f64_e32 v[94:95], v[88:89], v[66:67]
	v_fma_f64 v[64:65], -v[64:65], v[94:95], v[88:89]
	s_wait_alu 0xfffd
	s_delay_alu instid0(VALU_DEP_1) | instskip(NEXT) | instid1(VALU_DEP_1)
	v_div_fmas_f64 v[64:65], v[64:65], v[66:67], v[94:95]
	v_div_fixup_f64 v[64:65], v[64:65], v[18:19], v[98:99]
	v_mul_f64_e32 v[18:19], v[40:41], v[18:19]
	s_delay_alu instid0(VALU_DEP_2) | instskip(NEXT) | instid1(VALU_DEP_1)
	v_add_f64_e32 v[30:31], 1.0, v[64:65]
	v_div_scale_f64 v[64:65], null, v[30:31], v[30:31], v[144:145]
	s_delay_alu instid0(VALU_DEP_1) | instskip(NEXT) | instid1(TRANS32_DEP_1)
	v_rcp_f64_e32 v[66:67], v[64:65]
	v_fma_f64 v[88:89], -v[64:65], v[66:67], 1.0
	s_delay_alu instid0(VALU_DEP_1) | instskip(NEXT) | instid1(VALU_DEP_1)
	v_fma_f64 v[66:67], v[66:67], v[88:89], v[66:67]
	v_fma_f64 v[88:89], -v[64:65], v[66:67], 1.0
	s_delay_alu instid0(VALU_DEP_1) | instskip(SKIP_1) | instid1(VALU_DEP_1)
	v_fma_f64 v[66:67], v[66:67], v[88:89], v[66:67]
	v_div_scale_f64 v[88:89], vcc_lo, v[144:145], v[30:31], v[144:145]
	v_mul_f64_e32 v[94:95], v[88:89], v[66:67]
	s_delay_alu instid0(VALU_DEP_1) | instskip(SKIP_1) | instid1(VALU_DEP_1)
	v_fma_f64 v[64:65], -v[64:65], v[94:95], v[88:89]
	s_wait_alu 0xfffd
	v_div_fmas_f64 v[64:65], v[64:65], v[66:67], v[94:95]
	s_delay_alu instid0(VALU_DEP_1) | instskip(SKIP_2) | instid1(VALU_DEP_2)
	v_div_fixup_f64 v[188:189], v[64:65], v[30:31], v[144:145]
	v_mul_f64_e32 v[64:65], v[148:149], v[150:151]
	v_mul_f64_e32 v[30:31], v[30:31], v[30:31]
	v_div_scale_f64 v[66:67], null, v[68:69], v[68:69], v[64:65]
	s_delay_alu instid0(VALU_DEP_2) | instskip(NEXT) | instid1(VALU_DEP_2)
	v_mul_f64_e32 v[18:19], v[18:19], v[30:31]
	v_rcp_f64_e32 v[88:89], v[66:67]
	s_delay_alu instid0(TRANS32_DEP_1) | instskip(NEXT) | instid1(VALU_DEP_1)
	v_fma_f64 v[94:95], -v[66:67], v[88:89], 1.0
	v_fma_f64 v[88:89], v[88:89], v[94:95], v[88:89]
	s_delay_alu instid0(VALU_DEP_1) | instskip(NEXT) | instid1(VALU_DEP_1)
	v_fma_f64 v[94:95], -v[66:67], v[88:89], 1.0
	v_fma_f64 v[88:89], v[88:89], v[94:95], v[88:89]
	v_div_scale_f64 v[94:95], vcc_lo, v[64:65], v[68:69], v[64:65]
	s_delay_alu instid0(VALU_DEP_1) | instskip(NEXT) | instid1(VALU_DEP_1)
	v_mul_f64_e32 v[72:73], v[94:95], v[88:89]
	v_fma_f64 v[66:67], -v[66:67], v[72:73], v[94:95]
	s_wait_alu 0xfffd
	s_delay_alu instid0(VALU_DEP_1) | instskip(NEXT) | instid1(VALU_DEP_1)
	v_div_fmas_f64 v[66:67], v[66:67], v[88:89], v[72:73]
	v_div_fixup_f64 v[64:65], v[66:67], v[68:69], v[64:65]
	s_delay_alu instid0(VALU_DEP_1) | instskip(NEXT) | instid1(VALU_DEP_1)
	v_add_f64_e32 v[72:73], 1.0, v[64:65]
	v_div_scale_f64 v[64:65], null, v[72:73], v[72:73], 1.0
	s_delay_alu instid0(VALU_DEP_1) | instskip(NEXT) | instid1(TRANS32_DEP_1)
	v_rcp_f64_e32 v[66:67], v[64:65]
	v_fma_f64 v[88:89], -v[64:65], v[66:67], 1.0
	s_delay_alu instid0(VALU_DEP_1) | instskip(NEXT) | instid1(VALU_DEP_1)
	v_fma_f64 v[66:67], v[66:67], v[88:89], v[66:67]
	v_fma_f64 v[88:89], -v[64:65], v[66:67], 1.0
	s_delay_alu instid0(VALU_DEP_1) | instskip(SKIP_1) | instid1(VALU_DEP_1)
	v_fma_f64 v[66:67], v[66:67], v[88:89], v[66:67]
	v_div_scale_f64 v[88:89], vcc_lo, 1.0, v[72:73], 1.0
	v_mul_f64_e32 v[94:95], v[88:89], v[66:67]
	s_delay_alu instid0(VALU_DEP_1) | instskip(SKIP_1) | instid1(VALU_DEP_1)
	v_fma_f64 v[64:65], -v[64:65], v[94:95], v[88:89]
	s_wait_alu 0xfffd
	v_div_fmas_f64 v[64:65], v[64:65], v[66:67], v[94:95]
	s_delay_alu instid0(VALU_DEP_1) | instskip(SKIP_2) | instid1(VALU_DEP_2)
	v_div_fixup_f64 v[66:67], v[64:65], v[72:73], 1.0
	v_fma_f64 v[64:65], v[190:191], v[116:117], -v[188:189]
	v_mul_f64_e32 v[72:73], v[72:73], v[72:73]
	v_mul_f64_e32 v[64:65], v[104:105], v[64:65]
	s_delay_alu instid0(VALU_DEP_2) | instskip(NEXT) | instid1(VALU_DEP_2)
	v_mul_f64_e32 v[44:45], v[44:45], v[72:73]
	v_div_scale_f64 v[88:89], null, v[92:93], v[92:93], v[64:65]
	s_delay_alu instid0(VALU_DEP_1) | instskip(NEXT) | instid1(TRANS32_DEP_1)
	v_rcp_f64_e32 v[94:95], v[88:89]
	v_fma_f64 v[80:81], -v[88:89], v[94:95], 1.0
	s_delay_alu instid0(VALU_DEP_1) | instskip(NEXT) | instid1(VALU_DEP_1)
	v_fma_f64 v[80:81], v[94:95], v[80:81], v[94:95]
	v_fma_f64 v[94:95], -v[88:89], v[80:81], 1.0
	s_delay_alu instid0(VALU_DEP_1) | instskip(SKIP_1) | instid1(VALU_DEP_1)
	v_fma_f64 v[80:81], v[80:81], v[94:95], v[80:81]
	v_div_scale_f64 v[94:95], vcc_lo, v[64:65], v[92:93], v[64:65]
	v_mul_f64_e32 v[128:129], v[94:95], v[80:81]
	s_delay_alu instid0(VALU_DEP_1) | instskip(SKIP_2) | instid1(VALU_DEP_2)
	v_fma_f64 v[88:89], -v[88:89], v[128:129], v[94:95]
	v_mul_f64_e32 v[94:95], v[184:185], v[92:93]
	s_wait_alu 0xfffd
	v_div_fmas_f64 v[80:81], v[88:89], v[80:81], v[128:129]
	s_delay_alu instid0(VALU_DEP_1) | instskip(SKIP_1) | instid1(VALU_DEP_1)
	v_div_fixup_f64 v[64:65], v[80:81], v[92:93], v[64:65]
	v_fma_f64 v[80:81], v[178:179], -2.0, v[176:177]
	v_add_f64_e32 v[80:81], v[152:153], v[80:81]
	s_delay_alu instid0(VALU_DEP_1) | instskip(NEXT) | instid1(VALU_DEP_1)
	v_mul_f64_e32 v[80:81], v[14:15], v[80:81]
	v_div_scale_f64 v[88:89], null, v[94:95], v[94:95], v[80:81]
	s_delay_alu instid0(VALU_DEP_1) | instskip(NEXT) | instid1(TRANS32_DEP_1)
	v_rcp_f64_e32 v[128:129], v[88:89]
	v_fma_f64 v[132:133], -v[88:89], v[128:129], 1.0
	s_delay_alu instid0(VALU_DEP_1) | instskip(NEXT) | instid1(VALU_DEP_1)
	v_fma_f64 v[128:129], v[128:129], v[132:133], v[128:129]
	v_fma_f64 v[132:133], -v[88:89], v[128:129], 1.0
	s_delay_alu instid0(VALU_DEP_1) | instskip(SKIP_1) | instid1(VALU_DEP_1)
	v_fma_f64 v[128:129], v[128:129], v[132:133], v[128:129]
	v_div_scale_f64 v[132:133], vcc_lo, v[80:81], v[94:95], v[80:81]
	v_mul_f64_e32 v[136:137], v[132:133], v[128:129]
	s_delay_alu instid0(VALU_DEP_1) | instskip(SKIP_1) | instid1(VALU_DEP_1)
	v_fma_f64 v[88:89], -v[88:89], v[136:137], v[132:133]
	s_wait_alu 0xfffd
	v_div_fmas_f64 v[88:89], v[88:89], v[128:129], v[136:137]
	s_delay_alu instid0(VALU_DEP_1) | instskip(NEXT) | instid1(VALU_DEP_1)
	v_div_fixup_f64 v[80:81], v[88:89], v[94:95], v[80:81]
	v_add_f64_e64 v[64:65], v[64:65], -v[80:81]
	v_add_f64_e32 v[80:81], v[148:149], v[148:149]
	s_delay_alu instid0(VALU_DEP_2) | instskip(NEXT) | instid1(VALU_DEP_2)
	v_fma_f64 v[88:89], v[154:155], v[102:103], v[64:65]
	v_mul_f64_e32 v[80:81], v[80:81], v[150:151]
	s_delay_alu instid0(VALU_DEP_2) | instskip(NEXT) | instid1(VALU_DEP_2)
	v_mul_f64_e32 v[64:65], v[66:67], v[88:89]
	v_div_scale_f64 v[68:69], null, v[44:45], v[44:45], v[80:81]
	s_delay_alu instid0(VALU_DEP_1) | instskip(NEXT) | instid1(TRANS32_DEP_1)
	v_rcp_f64_e32 v[72:73], v[68:69]
	v_fma_f64 v[128:129], -v[68:69], v[72:73], 1.0
	s_delay_alu instid0(VALU_DEP_1) | instskip(NEXT) | instid1(VALU_DEP_1)
	v_fma_f64 v[72:73], v[72:73], v[128:129], v[72:73]
	v_fma_f64 v[128:129], -v[68:69], v[72:73], 1.0
	s_delay_alu instid0(VALU_DEP_1) | instskip(SKIP_1) | instid1(VALU_DEP_1)
	v_fma_f64 v[72:73], v[72:73], v[128:129], v[72:73]
	v_div_scale_f64 v[128:129], vcc_lo, v[80:81], v[44:45], v[80:81]
	v_mul_f64_e32 v[132:133], v[128:129], v[72:73]
	s_delay_alu instid0(VALU_DEP_1) | instskip(SKIP_1) | instid1(VALU_DEP_1)
	v_fma_f64 v[68:69], -v[68:69], v[132:133], v[128:129]
	s_wait_alu 0xfffd
	v_div_fmas_f64 v[68:69], v[68:69], v[72:73], v[132:133]
	s_delay_alu instid0(VALU_DEP_1) | instskip(SKIP_1) | instid1(VALU_DEP_1)
	v_div_fixup_f64 v[148:149], v[68:69], v[44:45], v[80:81]
	v_mul_f64_e32 v[44:45], v[34:35], v[28:29]
	v_mul_f64_e32 v[44:45], v[44:45], v[162:163]
	s_delay_alu instid0(VALU_DEP_1) | instskip(NEXT) | instid1(VALU_DEP_1)
	v_mul_f64_e32 v[44:45], v[44:45], v[170:171]
	v_div_scale_f64 v[68:69], null, v[174:175], v[174:175], v[44:45]
	s_delay_alu instid0(VALU_DEP_1) | instskip(NEXT) | instid1(TRANS32_DEP_1)
	v_rcp_f64_e32 v[72:73], v[68:69]
	v_fma_f64 v[80:81], -v[68:69], v[72:73], 1.0
	s_delay_alu instid0(VALU_DEP_1) | instskip(NEXT) | instid1(VALU_DEP_1)
	v_fma_f64 v[72:73], v[72:73], v[80:81], v[72:73]
	v_fma_f64 v[80:81], -v[68:69], v[72:73], 1.0
	s_delay_alu instid0(VALU_DEP_1) | instskip(SKIP_1) | instid1(VALU_DEP_1)
	v_fma_f64 v[72:73], v[72:73], v[80:81], v[72:73]
	v_div_scale_f64 v[80:81], vcc_lo, v[44:45], v[174:175], v[44:45]
	v_mul_f64_e32 v[128:129], v[80:81], v[72:73]
	s_delay_alu instid0(VALU_DEP_1) | instskip(SKIP_1) | instid1(VALU_DEP_1)
	v_fma_f64 v[68:69], -v[68:69], v[128:129], v[80:81]
	s_wait_alu 0xfffd
	v_div_fmas_f64 v[68:69], v[68:69], v[72:73], v[128:129]
	s_delay_alu instid0(VALU_DEP_1) | instskip(SKIP_1) | instid1(VALU_DEP_2)
	v_div_fixup_f64 v[44:45], v[68:69], v[174:175], v[44:45]
	v_add_f64_e32 v[68:69], v[144:145], v[144:145]
	v_add_f64_e32 v[44:45], v[44:45], v[44:45]
	s_delay_alu instid0(VALU_DEP_2) | instskip(NEXT) | instid1(VALU_DEP_1)
	v_mul_f64_e32 v[68:69], v[98:99], v[68:69]
	v_div_scale_f64 v[30:31], null, v[18:19], v[18:19], v[68:69]
	s_delay_alu instid0(VALU_DEP_1) | instskip(NEXT) | instid1(TRANS32_DEP_1)
	v_rcp_f64_e32 v[72:73], v[30:31]
	v_fma_f64 v[80:81], -v[30:31], v[72:73], 1.0
	s_delay_alu instid0(VALU_DEP_1) | instskip(NEXT) | instid1(VALU_DEP_1)
	v_fma_f64 v[72:73], v[72:73], v[80:81], v[72:73]
	v_fma_f64 v[80:81], -v[30:31], v[72:73], 1.0
	s_delay_alu instid0(VALU_DEP_1) | instskip(SKIP_1) | instid1(VALU_DEP_1)
	v_fma_f64 v[72:73], v[72:73], v[80:81], v[72:73]
	v_div_scale_f64 v[80:81], vcc_lo, v[68:69], v[18:19], v[68:69]
	v_mul_f64_e32 v[98:99], v[80:81], v[72:73]
	s_delay_alu instid0(VALU_DEP_1) | instskip(SKIP_1) | instid1(VALU_DEP_1)
	v_fma_f64 v[30:31], -v[30:31], v[98:99], v[80:81]
	s_wait_alu 0xfffd
	v_div_fmas_f64 v[30:31], v[30:31], v[72:73], v[98:99]
	s_delay_alu instid0(VALU_DEP_1) | instskip(SKIP_1) | instid1(VALU_DEP_2)
	v_div_fixup_f64 v[18:19], v[30:31], v[18:19], v[68:69]
	v_div_scale_f64 v[30:31], null, v[96:97], v[96:97], v[142:143]
	v_add_f64_e64 v[18:19], -v[116:117], -v[18:19]
	s_delay_alu instid0(VALU_DEP_2) | instskip(NEXT) | instid1(VALU_DEP_1)
	v_rcp_f64_e32 v[68:69], v[30:31]
	v_mul_f64_e32 v[18:19], v[104:105], v[18:19]
	s_delay_alu instid0(TRANS32_DEP_1) | instskip(NEXT) | instid1(VALU_DEP_1)
	v_fma_f64 v[72:73], -v[30:31], v[68:69], 1.0
	v_fma_f64 v[68:69], v[68:69], v[72:73], v[68:69]
	s_delay_alu instid0(VALU_DEP_1) | instskip(NEXT) | instid1(VALU_DEP_1)
	v_fma_f64 v[72:73], -v[30:31], v[68:69], 1.0
	v_fma_f64 v[68:69], v[68:69], v[72:73], v[68:69]
	v_div_scale_f64 v[72:73], vcc_lo, v[142:143], v[96:97], v[142:143]
	s_delay_alu instid0(VALU_DEP_1) | instskip(NEXT) | instid1(VALU_DEP_1)
	v_mul_f64_e32 v[80:81], v[72:73], v[68:69]
	v_fma_f64 v[30:31], -v[30:31], v[80:81], v[72:73]
	s_wait_alu 0xfffd
	s_delay_alu instid0(VALU_DEP_1) | instskip(SKIP_1) | instid1(VALU_DEP_2)
	v_div_fmas_f64 v[30:31], v[30:31], v[68:69], v[80:81]
	v_mul_f64_e32 v[68:69], v[96:97], v[96:97]
	v_div_fixup_f64 v[30:31], v[30:31], v[96:97], v[142:143]
	s_delay_alu instid0(VALU_DEP_2) | instskip(NEXT) | instid1(VALU_DEP_1)
	v_div_scale_f64 v[72:73], null, v[68:69], v[68:69], v[70:71]
	v_rcp_f64_e32 v[80:81], v[72:73]
	s_delay_alu instid0(TRANS32_DEP_1) | instskip(NEXT) | instid1(VALU_DEP_1)
	v_fma_f64 v[96:97], -v[72:73], v[80:81], 1.0
	v_fma_f64 v[80:81], v[80:81], v[96:97], v[80:81]
	s_delay_alu instid0(VALU_DEP_1) | instskip(NEXT) | instid1(VALU_DEP_1)
	v_fma_f64 v[96:97], -v[72:73], v[80:81], 1.0
	v_fma_f64 v[80:81], v[80:81], v[96:97], v[80:81]
	v_div_scale_f64 v[96:97], vcc_lo, v[70:71], v[68:69], v[70:71]
	s_delay_alu instid0(VALU_DEP_1) | instskip(NEXT) | instid1(VALU_DEP_1)
	v_mul_f64_e32 v[98:99], v[96:97], v[80:81]
	v_fma_f64 v[72:73], -v[72:73], v[98:99], v[96:97]
	s_wait_alu 0xfffd
	s_delay_alu instid0(VALU_DEP_1) | instskip(NEXT) | instid1(VALU_DEP_1)
	v_div_fmas_f64 v[72:73], v[72:73], v[80:81], v[98:99]
	v_div_fixup_f64 v[68:69], v[72:73], v[68:69], v[70:71]
	s_delay_alu instid0(VALU_DEP_1) | instskip(SKIP_1) | instid1(VALU_DEP_1)
	v_add_f64_e64 v[30:31], v[30:31], -v[68:69]
	v_mul_f64_e32 v[68:69], v[40:41], v[16:17]
	v_div_scale_f64 v[70:71], null, v[68:69], v[68:69], v[186:187]
	s_delay_alu instid0(VALU_DEP_1) | instskip(NEXT) | instid1(TRANS32_DEP_1)
	v_rcp_f64_e32 v[72:73], v[70:71]
	v_fma_f64 v[80:81], -v[70:71], v[72:73], 1.0
	s_delay_alu instid0(VALU_DEP_1) | instskip(NEXT) | instid1(VALU_DEP_1)
	v_fma_f64 v[72:73], v[72:73], v[80:81], v[72:73]
	v_fma_f64 v[80:81], -v[70:71], v[72:73], 1.0
	s_delay_alu instid0(VALU_DEP_1) | instskip(SKIP_1) | instid1(VALU_DEP_1)
	v_fma_f64 v[72:73], v[72:73], v[80:81], v[72:73]
	v_div_scale_f64 v[80:81], vcc_lo, v[186:187], v[68:69], v[186:187]
	v_mul_f64_e32 v[96:97], v[80:81], v[72:73]
	s_delay_alu instid0(VALU_DEP_1) | instskip(SKIP_1) | instid1(VALU_DEP_1)
	v_fma_f64 v[70:71], -v[70:71], v[96:97], v[80:81]
	s_wait_alu 0xfffd
	v_div_fmas_f64 v[70:71], v[70:71], v[72:73], v[96:97]
	s_delay_alu instid0(VALU_DEP_1) | instskip(SKIP_1) | instid1(VALU_DEP_2)
	v_div_fixup_f64 v[68:69], v[70:71], v[68:69], v[186:187]
	v_div_scale_f64 v[70:71], null, v[92:93], v[92:93], v[18:19]
	v_fma_f64 v[44:45], v[140:141], v[68:69], v[44:45]
	s_delay_alu instid0(VALU_DEP_2) | instskip(NEXT) | instid1(VALU_DEP_1)
	v_rcp_f64_e32 v[72:73], v[70:71]
	v_add_f64_e32 v[30:31], v[30:31], v[44:45]
	s_delay_alu instid0(TRANS32_DEP_1) | instskip(NEXT) | instid1(VALU_DEP_2)
	v_fma_f64 v[80:81], -v[70:71], v[72:73], 1.0
	v_mul_f64_e32 v[30:31], v[14:15], v[30:31]
	s_delay_alu instid0(VALU_DEP_2) | instskip(NEXT) | instid1(VALU_DEP_2)
	v_fma_f64 v[72:73], v[72:73], v[80:81], v[72:73]
	v_div_scale_f64 v[44:45], null, v[94:95], v[94:95], v[30:31]
	s_delay_alu instid0(VALU_DEP_2) | instskip(NEXT) | instid1(VALU_DEP_2)
	v_fma_f64 v[80:81], -v[70:71], v[72:73], 1.0
	v_rcp_f64_e32 v[68:69], v[44:45]
	s_delay_alu instid0(VALU_DEP_1) | instskip(SKIP_1) | instid1(VALU_DEP_1)
	v_fma_f64 v[72:73], v[72:73], v[80:81], v[72:73]
	v_div_scale_f64 v[80:81], vcc_lo, v[18:19], v[92:93], v[18:19]
	v_mul_f64_e32 v[96:97], v[80:81], v[72:73]
	s_delay_alu instid0(VALU_DEP_1) | instskip(SKIP_1) | instid1(VALU_DEP_1)
	v_fma_f64 v[70:71], -v[70:71], v[96:97], v[80:81]
	s_wait_alu 0xfffd
	v_div_fmas_f64 v[70:71], v[70:71], v[72:73], v[96:97]
	s_delay_alu instid0(VALU_DEP_1) | instskip(NEXT) | instid1(TRANS32_DEP_1)
	v_div_fixup_f64 v[18:19], v[70:71], v[92:93], v[18:19]
	v_fma_f64 v[70:71], -v[44:45], v[68:69], 1.0
	s_delay_alu instid0(VALU_DEP_2) | instskip(NEXT) | instid1(VALU_DEP_2)
	v_add_f64_e64 v[18:19], v[18:19], -v[102:103]
	v_fma_f64 v[68:69], v[68:69], v[70:71], v[68:69]
	s_delay_alu instid0(VALU_DEP_1) | instskip(NEXT) | instid1(VALU_DEP_1)
	v_fma_f64 v[70:71], -v[44:45], v[68:69], 1.0
	v_fma_f64 v[68:69], v[68:69], v[70:71], v[68:69]
	v_div_scale_f64 v[70:71], vcc_lo, v[30:31], v[94:95], v[30:31]
	s_delay_alu instid0(VALU_DEP_1) | instskip(NEXT) | instid1(VALU_DEP_1)
	v_mul_f64_e32 v[72:73], v[70:71], v[68:69]
	v_fma_f64 v[44:45], -v[44:45], v[72:73], v[70:71]
	s_wait_alu 0xfffd
	s_delay_alu instid0(VALU_DEP_1) | instskip(NEXT) | instid1(VALU_DEP_1)
	v_div_fmas_f64 v[44:45], v[44:45], v[68:69], v[72:73]
	v_div_fixup_f64 v[30:31], v[44:45], v[94:95], v[30:31]
                                        ; implicit-def: $vgpr94_vgpr95
	s_delay_alu instid0(VALU_DEP_1) | instskip(SKIP_1) | instid1(VALU_DEP_1)
	v_add_f64_e64 v[18:19], v[18:19], -v[30:31]
	v_mul_f64_e32 v[30:31], v[148:149], v[88:89]
	v_fma_f64 v[66:67], v[66:67], v[18:19], v[30:31]
	s_wait_alu 0xfffe
	s_delay_alu instid0(VALU_DEP_1)
	v_cmp_ngt_f64_e64 s0, |v[66:67]|, s[0:1]
	s_and_saveexec_b32 s1, s0
	s_wait_alu 0xfffe
	s_xor_b32 s0, exec_lo, s1
	s_cbranch_execz .LBB0_59
; %bb.58:
	v_mul_f64_e32 v[94:95], s[12:13], v[64:65]
                                        ; implicit-def: $vgpr66_vgpr67
                                        ; implicit-def: $vgpr64_vgpr65
.LBB0_59:
	s_wait_alu 0xfffe
	s_and_not1_saveexec_b32 s1, s0
	s_cbranch_execz .LBB0_61
; %bb.60:
	v_mul_f64_e32 v[18:19], s[12:13], v[66:67]
	s_mov_b32 s2, 0x652b82fe
	s_mov_b32 s3, 0x3ff71547
	;; [unrolled: 1-line block ×4, first 2 shown]
	s_wait_alu 0xfffe
	s_delay_alu instid0(VALU_DEP_1) | instskip(SKIP_4) | instid1(VALU_DEP_3)
	v_mul_f64_e32 v[30:31], s[2:3], v[18:19]
	s_mov_b32 s2, 0xfefa39ef
	s_mov_b32 s3, 0xbfe62e42
	v_cmp_nlt_f64_e32 vcc_lo, 0x40900000, v[18:19]
	v_cmp_ngt_f64_e64 s0, 0xc090cc00, v[18:19]
	v_rndne_f64_e32 v[30:31], v[30:31]
	s_wait_alu 0xfffe
	s_delay_alu instid0(VALU_DEP_1) | instskip(SKIP_4) | instid1(VALU_DEP_2)
	v_fma_f64 v[44:45], v[30:31], s[2:3], v[18:19]
	s_mov_b32 s2, 0x3b39803f
	s_mov_b32 s3, 0xbc7abc9e
	v_cvt_i32_f64_e32 v70, v[30:31]
	s_wait_alu 0xfffe
	v_fma_f64 v[44:45], v[30:31], s[2:3], v[44:45]
	s_mov_b32 s2, 0xfca7ab0c
	s_mov_b32 s3, 0x3e928af3
	s_wait_alu 0xfffe
	s_delay_alu instid0(VALU_DEP_1) | instskip(SKIP_3) | instid1(VALU_DEP_1)
	v_fma_f64 v[68:69], v[44:45], s[4:5], s[2:3]
	s_mov_b32 s2, 0x623fde64
	s_mov_b32 s3, 0x3ec71dee
	s_wait_alu 0xfffe
	v_fma_f64 v[68:69], v[44:45], v[68:69], s[2:3]
	s_mov_b32 s2, 0x7c89e6b0
	s_mov_b32 s3, 0x3efa0199
	s_wait_alu 0xfffe
	s_delay_alu instid0(VALU_DEP_1) | instskip(SKIP_3) | instid1(VALU_DEP_1)
	v_fma_f64 v[68:69], v[44:45], v[68:69], s[2:3]
	s_mov_b32 s2, 0x14761f6e
	s_mov_b32 s3, 0x3f2a01a0
	s_wait_alu 0xfffe
	v_fma_f64 v[68:69], v[44:45], v[68:69], s[2:3]
	s_mov_b32 s2, 0x1852b7b0
	s_mov_b32 s3, 0x3f56c16c
	s_wait_alu 0xfffe
	s_delay_alu instid0(VALU_DEP_1) | instskip(SKIP_3) | instid1(VALU_DEP_1)
	v_fma_f64 v[68:69], v[44:45], v[68:69], s[2:3]
	s_mov_b32 s2, 0x11122322
	s_mov_b32 s3, 0x3f811111
	s_wait_alu 0xfffe
	v_fma_f64 v[68:69], v[44:45], v[68:69], s[2:3]
	s_mov_b32 s2, 0x555502a1
	s_mov_b32 s3, 0x3fa55555
	s_wait_alu 0xfffe
	s_delay_alu instid0(VALU_DEP_1) | instskip(SKIP_3) | instid1(VALU_DEP_1)
	v_fma_f64 v[68:69], v[44:45], v[68:69], s[2:3]
	s_mov_b32 s2, 0x55555511
	s_mov_b32 s3, 0x3fc55555
	s_wait_alu 0xfffe
	v_fma_f64 v[68:69], v[44:45], v[68:69], s[2:3]
	s_mov_b32 s2, 11
	s_mov_b32 s3, 0x3fe00000
	s_wait_alu 0xfffe
	s_delay_alu instid0(VALU_DEP_1) | instskip(NEXT) | instid1(VALU_DEP_1)
	v_fma_f64 v[68:69], v[44:45], v[68:69], s[2:3]
	v_fma_f64 v[68:69], v[44:45], v[68:69], 1.0
	s_delay_alu instid0(VALU_DEP_1) | instskip(NEXT) | instid1(VALU_DEP_1)
	v_fma_f64 v[30:31], v[44:45], v[68:69], 1.0
	v_ldexp_f64 v[30:31], v[30:31], v70
	s_delay_alu instid0(VALU_DEP_1) | instskip(SKIP_1) | instid1(VALU_DEP_1)
	v_add_f64_e32 v[30:31], -1.0, v[30:31]
	s_wait_alu 0xfffd
	v_cndmask_b32_e32 v31, 0x7ff00000, v31, vcc_lo
	s_and_b32 vcc_lo, s0, vcc_lo
	s_wait_alu 0xfffe
	s_delay_alu instid0(VALU_DEP_2) | instskip(NEXT) | instid1(VALU_DEP_2)
	v_cndmask_b32_e32 v18, 0, v30, vcc_lo
	v_cndmask_b32_e64 v19, 0xbff00000, v31, s0
	s_delay_alu instid0(VALU_DEP_1) | instskip(NEXT) | instid1(VALU_DEP_1)
	v_mul_f64_e32 v[18:19], v[64:65], v[18:19]
	v_div_scale_f64 v[30:31], null, v[66:67], v[66:67], v[18:19]
	s_delay_alu instid0(VALU_DEP_1) | instskip(NEXT) | instid1(TRANS32_DEP_1)
	v_rcp_f64_e32 v[44:45], v[30:31]
	v_fma_f64 v[64:65], -v[30:31], v[44:45], 1.0
	s_delay_alu instid0(VALU_DEP_1) | instskip(NEXT) | instid1(VALU_DEP_1)
	v_fma_f64 v[44:45], v[44:45], v[64:65], v[44:45]
	v_fma_f64 v[64:65], -v[30:31], v[44:45], 1.0
	s_delay_alu instid0(VALU_DEP_1) | instskip(SKIP_1) | instid1(VALU_DEP_1)
	v_fma_f64 v[44:45], v[44:45], v[64:65], v[44:45]
	v_div_scale_f64 v[64:65], vcc_lo, v[18:19], v[66:67], v[18:19]
	v_mul_f64_e32 v[68:69], v[64:65], v[44:45]
	s_delay_alu instid0(VALU_DEP_1) | instskip(SKIP_1) | instid1(VALU_DEP_1)
	v_fma_f64 v[30:31], -v[30:31], v[68:69], v[64:65]
	s_wait_alu 0xfffd
	v_div_fmas_f64 v[30:31], v[30:31], v[44:45], v[68:69]
	s_delay_alu instid0(VALU_DEP_1)
	v_div_fixup_f64 v[94:95], v[30:31], v[66:67], v[18:19]
.LBB0_61:
	s_wait_alu 0xfffe
	s_or_b32 exec_lo, exec_lo, s1
	scratch_load_b64 v[18:19], off, off offset:112 th:TH_LOAD_LU ; 8-byte Folded Reload
	v_mul_f64_e32 v[64:65], v[114:115], v[114:115]
	s_mov_b32 s0, 0xe2308c3a
	s_mov_b32 s1, 0x3e45798e
	s_wait_loadcnt 0x0
	v_mul_f64_e32 v[66:67], v[18:19], v[18:19]
	s_delay_alu instid0(VALU_DEP_1) | instskip(NEXT) | instid1(VALU_DEP_1)
	v_div_scale_f64 v[18:19], null, v[64:65], v[64:65], v[66:67]
	v_rcp_f64_e32 v[30:31], v[18:19]
	s_delay_alu instid0(TRANS32_DEP_1) | instskip(NEXT) | instid1(VALU_DEP_1)
	v_fma_f64 v[44:45], -v[18:19], v[30:31], 1.0
	v_fma_f64 v[30:31], v[30:31], v[44:45], v[30:31]
	s_delay_alu instid0(VALU_DEP_1) | instskip(NEXT) | instid1(VALU_DEP_1)
	v_fma_f64 v[44:45], -v[18:19], v[30:31], 1.0
	v_fma_f64 v[30:31], v[30:31], v[44:45], v[30:31]
	v_div_scale_f64 v[44:45], vcc_lo, v[66:67], v[64:65], v[66:67]
	s_delay_alu instid0(VALU_DEP_1) | instskip(NEXT) | instid1(VALU_DEP_1)
	v_mul_f64_e32 v[68:69], v[44:45], v[30:31]
	v_fma_f64 v[18:19], -v[18:19], v[68:69], v[44:45]
	s_wait_alu 0xfffd
	s_delay_alu instid0(VALU_DEP_1) | instskip(SKIP_2) | instid1(VALU_DEP_1)
	v_div_fmas_f64 v[18:19], v[18:19], v[30:31], v[68:69]
	scratch_load_b64 v[30:31], off, off offset:128 th:TH_LOAD_LU ; 8-byte Folded Reload
	v_div_fixup_f64 v[18:19], v[18:19], v[64:65], v[66:67]
	v_add_f64_e32 v[88:89], 1.0, v[18:19]
	s_wait_loadcnt 0x0
	v_add_f64_e64 v[70:71], v[138:139], -v[30:31]
	s_delay_alu instid0(VALU_DEP_1) | instskip(NEXT) | instid1(VALU_DEP_1)
	v_div_scale_f64 v[18:19], null, v[88:89], v[88:89], v[70:71]
	v_rcp_f64_e32 v[30:31], v[18:19]
	s_delay_alu instid0(TRANS32_DEP_1) | instskip(NEXT) | instid1(VALU_DEP_1)
	v_fma_f64 v[44:45], -v[18:19], v[30:31], 1.0
	v_fma_f64 v[30:31], v[30:31], v[44:45], v[30:31]
	s_delay_alu instid0(VALU_DEP_1) | instskip(NEXT) | instid1(VALU_DEP_1)
	v_fma_f64 v[44:45], -v[18:19], v[30:31], 1.0
	v_fma_f64 v[30:31], v[30:31], v[44:45], v[30:31]
	v_div_scale_f64 v[44:45], vcc_lo, v[70:71], v[88:89], v[70:71]
	s_delay_alu instid0(VALU_DEP_1) | instskip(NEXT) | instid1(VALU_DEP_1)
	v_mul_f64_e32 v[68:69], v[44:45], v[30:31]
	v_fma_f64 v[18:19], -v[18:19], v[68:69], v[44:45]
	v_add_f64_e64 v[44:45], -v[112:113], 1.0
	s_wait_alu 0xfffd
	s_delay_alu instid0(VALU_DEP_2) | instskip(SKIP_1) | instid1(VALU_DEP_2)
	v_div_fmas_f64 v[18:19], v[18:19], v[30:31], v[68:69]
	v_add_f64_e32 v[30:31], v[40:41], v[94:95]
	v_div_fixup_f64 v[18:19], v[18:19], v[88:89], v[70:71]
	global_store_b64 v[130:131], v[30:31], off
	v_mul_f64_e32 v[30:31], v[112:113], v[58:59]
	v_add_f64_e64 v[94:95], v[138:139], -v[18:19]
	scratch_load_b64 v[18:19], off, off offset:120 th:TH_LOAD_LU ; 8-byte Folded Reload
                                        ; implicit-def: $vgpr138_vgpr139
	s_wait_loadcnt 0x0
	v_mul_f64_e32 v[18:19], v[18:19], v[94:95]
	s_delay_alu instid0(VALU_DEP_1) | instskip(SKIP_1) | instid1(VALU_DEP_2)
	v_mul_f64_e32 v[30:31], v[30:31], v[18:19]
	v_fma_f64 v[130:131], -v[58:59], v[18:19], -v[134:135]
	v_fma_f64 v[132:133], v[44:45], v[134:135], -v[30:31]
	s_wait_alu 0xfffe
	s_delay_alu instid0(VALU_DEP_2)
	v_cmp_ngt_f64_e64 s0, |v[130:131]|, s[0:1]
	s_and_saveexec_b32 s1, s0
	s_wait_alu 0xfffe
	s_xor_b32 s0, exec_lo, s1
	s_cbranch_execz .LBB0_63
; %bb.62:
	v_mul_f64_e32 v[138:139], s[12:13], v[132:133]
                                        ; implicit-def: $vgpr130_vgpr131
                                        ; implicit-def: $vgpr132_vgpr133
.LBB0_63:
	s_wait_alu 0xfffe
	s_or_saveexec_b32 s1, s0
	v_mul_f64_e32 v[96:97], v[190:191], v[116:117]
	s_wait_alu 0xfffe
	s_xor_b32 exec_lo, exec_lo, s1
	s_cbranch_execz .LBB0_65
; %bb.64:
	v_mul_f64_e32 v[18:19], s[12:13], v[130:131]
	s_mov_b32 s2, 0x652b82fe
	s_mov_b32 s3, 0x3ff71547
	;; [unrolled: 1-line block ×4, first 2 shown]
	s_wait_alu 0xfffe
	s_delay_alu instid0(VALU_DEP_1) | instskip(SKIP_4) | instid1(VALU_DEP_3)
	v_mul_f64_e32 v[30:31], s[2:3], v[18:19]
	s_mov_b32 s2, 0xfefa39ef
	s_mov_b32 s3, 0xbfe62e42
	v_cmp_nlt_f64_e32 vcc_lo, 0x40900000, v[18:19]
	v_cmp_ngt_f64_e64 s0, 0xc090cc00, v[18:19]
	v_rndne_f64_e32 v[30:31], v[30:31]
	s_wait_alu 0xfffe
	s_delay_alu instid0(VALU_DEP_1) | instskip(SKIP_4) | instid1(VALU_DEP_2)
	v_fma_f64 v[44:45], v[30:31], s[2:3], v[18:19]
	s_mov_b32 s2, 0x3b39803f
	s_mov_b32 s3, 0xbc7abc9e
	v_cvt_i32_f64_e32 v72, v[30:31]
	s_wait_alu 0xfffe
	v_fma_f64 v[44:45], v[30:31], s[2:3], v[44:45]
	s_mov_b32 s2, 0xfca7ab0c
	s_mov_b32 s3, 0x3e928af3
	s_wait_alu 0xfffe
	s_delay_alu instid0(VALU_DEP_1) | instskip(SKIP_3) | instid1(VALU_DEP_1)
	v_fma_f64 v[68:69], v[44:45], s[4:5], s[2:3]
	s_mov_b32 s2, 0x623fde64
	s_mov_b32 s3, 0x3ec71dee
	s_wait_alu 0xfffe
	v_fma_f64 v[68:69], v[44:45], v[68:69], s[2:3]
	s_mov_b32 s2, 0x7c89e6b0
	s_mov_b32 s3, 0x3efa0199
	s_wait_alu 0xfffe
	s_delay_alu instid0(VALU_DEP_1) | instskip(SKIP_3) | instid1(VALU_DEP_1)
	v_fma_f64 v[68:69], v[44:45], v[68:69], s[2:3]
	s_mov_b32 s2, 0x14761f6e
	s_mov_b32 s3, 0x3f2a01a0
	;; [unrolled: 9-line block ×4, first 2 shown]
	s_wait_alu 0xfffe
	v_fma_f64 v[68:69], v[44:45], v[68:69], s[2:3]
	s_mov_b32 s2, 11
	s_mov_b32 s3, 0x3fe00000
	s_wait_alu 0xfffe
	s_delay_alu instid0(VALU_DEP_1) | instskip(NEXT) | instid1(VALU_DEP_1)
	v_fma_f64 v[68:69], v[44:45], v[68:69], s[2:3]
	v_fma_f64 v[68:69], v[44:45], v[68:69], 1.0
	s_delay_alu instid0(VALU_DEP_1) | instskip(NEXT) | instid1(VALU_DEP_1)
	v_fma_f64 v[30:31], v[44:45], v[68:69], 1.0
	v_ldexp_f64 v[30:31], v[30:31], v72
	s_delay_alu instid0(VALU_DEP_1) | instskip(SKIP_1) | instid1(VALU_DEP_1)
	v_add_f64_e32 v[30:31], -1.0, v[30:31]
	s_wait_alu 0xfffd
	v_cndmask_b32_e32 v31, 0x7ff00000, v31, vcc_lo
	s_and_b32 vcc_lo, s0, vcc_lo
	s_wait_alu 0xfffe
	s_delay_alu instid0(VALU_DEP_2) | instskip(NEXT) | instid1(VALU_DEP_2)
	v_cndmask_b32_e32 v18, 0, v30, vcc_lo
	v_cndmask_b32_e64 v19, 0xbff00000, v31, s0
	s_delay_alu instid0(VALU_DEP_1) | instskip(NEXT) | instid1(VALU_DEP_1)
	v_mul_f64_e32 v[18:19], v[132:133], v[18:19]
	v_div_scale_f64 v[30:31], null, v[130:131], v[130:131], v[18:19]
	s_delay_alu instid0(VALU_DEP_1) | instskip(NEXT) | instid1(TRANS32_DEP_1)
	v_rcp_f64_e32 v[44:45], v[30:31]
	v_fma_f64 v[68:69], -v[30:31], v[44:45], 1.0
	s_delay_alu instid0(VALU_DEP_1) | instskip(NEXT) | instid1(VALU_DEP_1)
	v_fma_f64 v[44:45], v[44:45], v[68:69], v[44:45]
	v_fma_f64 v[68:69], -v[30:31], v[44:45], 1.0
	s_delay_alu instid0(VALU_DEP_1) | instskip(SKIP_1) | instid1(VALU_DEP_1)
	v_fma_f64 v[44:45], v[44:45], v[68:69], v[44:45]
	v_div_scale_f64 v[68:69], vcc_lo, v[18:19], v[130:131], v[18:19]
	v_mul_f64_e32 v[72:73], v[68:69], v[44:45]
	s_delay_alu instid0(VALU_DEP_1) | instskip(SKIP_1) | instid1(VALU_DEP_1)
	v_fma_f64 v[30:31], -v[30:31], v[72:73], v[68:69]
	s_wait_alu 0xfffd
	v_div_fmas_f64 v[30:31], v[30:31], v[44:45], v[72:73]
	s_delay_alu instid0(VALU_DEP_1)
	v_div_fixup_f64 v[138:139], v[30:31], v[130:131], v[18:19]
.LBB0_65:
	s_or_b32 exec_lo, exec_lo, s1
	v_div_scale_f64 v[18:19], null, v[94:95], v[94:95], v[126:127]
	v_mul_f64_e32 v[66:67], -2.0, v[66:67]
	v_mul_f64_e32 v[64:65], v[114:115], v[64:65]
	s_mov_b32 s1, 0x3fe55555
	s_mov_b32 s0, 0x55555555
	;; [unrolled: 1-line block ×6, first 2 shown]
	v_mov_b32_e32 v142, 0
	s_delay_alu instid0(VALU_DEP_4) | instskip(NEXT) | instid1(VALU_DEP_3)
	v_rcp_f64_e32 v[30:31], v[18:19]
	v_mul_f64_e32 v[66:67], v[66:67], v[70:71]
	v_mul_f64_e32 v[70:71], v[88:89], v[88:89]
	s_delay_alu instid0(TRANS32_DEP_1) | instskip(NEXT) | instid1(VALU_DEP_2)
	v_fma_f64 v[44:45], -v[18:19], v[30:31], 1.0
	v_mul_f64_e32 v[64:65], v[64:65], v[70:71]
	s_delay_alu instid0(VALU_DEP_2) | instskip(NEXT) | instid1(VALU_DEP_2)
	v_fma_f64 v[30:31], v[30:31], v[44:45], v[30:31]
	v_div_scale_f64 v[70:71], null, v[64:65], v[64:65], v[66:67]
	s_delay_alu instid0(VALU_DEP_2) | instskip(NEXT) | instid1(VALU_DEP_1)
	v_fma_f64 v[44:45], -v[18:19], v[30:31], 1.0
	v_fma_f64 v[30:31], v[30:31], v[44:45], v[30:31]
	v_div_scale_f64 v[44:45], vcc_lo, v[126:127], v[94:95], v[126:127]
	s_delay_alu instid0(VALU_DEP_1) | instskip(NEXT) | instid1(VALU_DEP_1)
	v_mul_f64_e32 v[68:69], v[44:45], v[30:31]
	v_fma_f64 v[18:19], -v[18:19], v[68:69], v[44:45]
	scratch_load_b64 v[44:45], off, off offset:104 th:TH_LOAD_LU ; 8-byte Folded Reload
	s_wait_alu 0xfffd
	v_div_fmas_f64 v[18:19], v[18:19], v[30:31], v[68:69]
	s_delay_alu instid0(VALU_DEP_1) | instskip(SKIP_1) | instid1(VALU_DEP_1)
	v_div_fixup_f64 v[136:137], v[18:19], v[94:95], v[126:127]
	v_mul_f64_e32 v[18:19], v[112:113], v[180:181]
	v_mul_f64_e32 v[30:31], v[18:19], v[136:137]
	s_wait_loadcnt 0x0
	v_fma_f64 v[134:135], v[180:181], v[136:137], v[44:45]
	s_delay_alu instid0(VALU_DEP_1) | instskip(NEXT) | instid1(VALU_DEP_1)
	v_div_scale_f64 v[44:45], null, v[134:135], v[134:135], v[30:31]
	v_rcp_f64_e32 v[68:69], v[44:45]
	s_delay_alu instid0(TRANS32_DEP_1) | instskip(NEXT) | instid1(VALU_DEP_1)
	v_fma_f64 v[72:73], -v[44:45], v[68:69], 1.0
	v_fma_f64 v[68:69], v[68:69], v[72:73], v[68:69]
	s_delay_alu instid0(VALU_DEP_1) | instskip(NEXT) | instid1(VALU_DEP_1)
	v_fma_f64 v[72:73], -v[44:45], v[68:69], 1.0
	v_fma_f64 v[68:69], v[68:69], v[72:73], v[68:69]
	v_div_scale_f64 v[72:73], vcc_lo, v[30:31], v[134:135], v[30:31]
	s_delay_alu instid0(VALU_DEP_1) | instskip(NEXT) | instid1(VALU_DEP_1)
	v_mul_f64_e32 v[80:81], v[72:73], v[68:69]
	v_fma_f64 v[44:45], -v[44:45], v[80:81], v[72:73]
	s_wait_alu 0xfffd
	s_delay_alu instid0(VALU_DEP_1) | instskip(NEXT) | instid1(VALU_DEP_1)
	v_div_fmas_f64 v[44:45], v[44:45], v[68:69], v[80:81]
	v_div_fixup_f64 v[128:129], v[44:45], v[134:135], v[30:31]
	v_add_f64_e32 v[44:45], v[114:115], v[124:125]
	v_mul_f64_e32 v[30:31], v[122:123], v[124:125]
	s_delay_alu instid0(VALU_DEP_3) | instskip(NEXT) | instid1(VALU_DEP_3)
	v_mul_f64_e32 v[144:145], v[118:119], v[128:129]
	v_mul_f64_e32 v[68:69], v[44:45], v[44:45]
	s_delay_alu instid0(VALU_DEP_1) | instskip(SKIP_1) | instid1(VALU_DEP_2)
	v_div_scale_f64 v[72:73], null, v[68:69], v[68:69], v[30:31]
	v_mul_f64_e32 v[44:45], v[44:45], v[68:69]
	v_rcp_f64_e32 v[80:81], v[72:73]
	s_delay_alu instid0(TRANS32_DEP_1) | instskip(NEXT) | instid1(VALU_DEP_1)
	v_fma_f64 v[98:99], -v[72:73], v[80:81], 1.0
	v_fma_f64 v[80:81], v[80:81], v[98:99], v[80:81]
	s_delay_alu instid0(VALU_DEP_1) | instskip(NEXT) | instid1(VALU_DEP_1)
	v_fma_f64 v[98:99], -v[72:73], v[80:81], 1.0
	v_fma_f64 v[80:81], v[80:81], v[98:99], v[80:81]
	v_div_scale_f64 v[98:99], vcc_lo, v[30:31], v[68:69], v[30:31]
	s_delay_alu instid0(VALU_DEP_1) | instskip(NEXT) | instid1(VALU_DEP_1)
	v_mul_f64_e32 v[130:131], v[98:99], v[80:81]
	v_fma_f64 v[72:73], -v[72:73], v[130:131], v[98:99]
	s_wait_alu 0xfffd
	s_delay_alu instid0(VALU_DEP_1) | instskip(NEXT) | instid1(VALU_DEP_1)
	v_div_fmas_f64 v[72:73], v[72:73], v[80:81], v[130:131]
	v_div_fixup_f64 v[30:31], v[72:73], v[68:69], v[30:31]
	s_delay_alu instid0(VALU_DEP_1) | instskip(NEXT) | instid1(VALU_DEP_1)
	v_add_f64_e32 v[30:31], 1.0, v[30:31]
	v_div_scale_f64 v[72:73], null, v[30:31], v[30:31], 1.0
	s_delay_alu instid0(VALU_DEP_1) | instskip(NEXT) | instid1(TRANS32_DEP_1)
	v_rcp_f64_e32 v[80:81], v[72:73]
	v_fma_f64 v[98:99], -v[72:73], v[80:81], 1.0
	s_delay_alu instid0(VALU_DEP_1) | instskip(NEXT) | instid1(VALU_DEP_1)
	v_fma_f64 v[80:81], v[80:81], v[98:99], v[80:81]
	v_fma_f64 v[98:99], -v[72:73], v[80:81], 1.0
	s_delay_alu instid0(VALU_DEP_1) | instskip(SKIP_1) | instid1(VALU_DEP_1)
	v_fma_f64 v[80:81], v[80:81], v[98:99], v[80:81]
	v_div_scale_f64 v[98:99], vcc_lo, 1.0, v[30:31], 1.0
	v_mul_f64_e32 v[130:131], v[98:99], v[80:81]
	s_delay_alu instid0(VALU_DEP_1) | instskip(SKIP_1) | instid1(VALU_DEP_1)
	v_fma_f64 v[72:73], -v[72:73], v[130:131], v[98:99]
	s_wait_alu 0xfffd
	v_div_fmas_f64 v[72:73], v[72:73], v[80:81], v[130:131]
	s_delay_alu instid0(VALU_DEP_1)
	v_div_fixup_f64 v[130:131], v[72:73], v[30:31], 1.0
	v_add_f64_e32 v[72:73], v[112:113], v[138:139]
	v_mul_f64_e32 v[30:31], v[30:31], v[30:31]
	global_store_b64 v[120:121], v[72:73], off
	v_add_f64_e64 v[72:73], v[114:115], -v[58:59]
	v_mul_f64_e32 v[30:31], v[44:45], v[30:31]
	s_delay_alu instid0(VALU_DEP_2) | instskip(NEXT) | instid1(VALU_DEP_1)
	v_mul_f64_e32 v[132:133], v[72:73], v[118:119]
	v_fma_f64 v[72:73], -v[132:133], v[128:129], -v[96:97]
	s_delay_alu instid0(VALU_DEP_1) | instskip(SKIP_1) | instid1(VALU_DEP_1)
	v_add_f64_e32 v[138:139], v[188:189], v[72:73]
	v_rcp_f64_e32 v[72:73], v[70:71]
	v_mul_f64_e32 v[120:121], v[130:131], v[138:139]
	s_delay_alu instid0(TRANS32_DEP_1) | instskip(NEXT) | instid1(VALU_DEP_1)
	v_fma_f64 v[80:81], -v[70:71], v[72:73], 1.0
	v_fma_f64 v[72:73], v[72:73], v[80:81], v[72:73]
	s_delay_alu instid0(VALU_DEP_1) | instskip(NEXT) | instid1(VALU_DEP_1)
	v_fma_f64 v[80:81], -v[70:71], v[72:73], 1.0
	v_fma_f64 v[72:73], v[72:73], v[80:81], v[72:73]
	v_div_scale_f64 v[80:81], vcc_lo, v[66:67], v[64:65], v[66:67]
	s_delay_alu instid0(VALU_DEP_1) | instskip(NEXT) | instid1(VALU_DEP_1)
	v_mul_f64_e32 v[88:89], v[80:81], v[72:73]
	v_fma_f64 v[70:71], -v[70:71], v[88:89], v[80:81]
	s_wait_alu 0xfffd
	s_delay_alu instid0(VALU_DEP_1) | instskip(NEXT) | instid1(VALU_DEP_1)
	v_div_fmas_f64 v[70:71], v[70:71], v[72:73], v[88:89]
	v_div_fixup_f64 v[140:141], v[70:71], v[64:65], v[66:67]
	v_add_f64_e32 v[64:65], v[122:123], v[122:123]
	s_delay_alu instid0(VALU_DEP_1) | instskip(NEXT) | instid1(VALU_DEP_1)
	v_mul_f64_e32 v[64:65], v[64:65], v[124:125]
	v_div_scale_f64 v[44:45], null, v[30:31], v[30:31], v[64:65]
	s_delay_alu instid0(VALU_DEP_1) | instskip(NEXT) | instid1(TRANS32_DEP_1)
	v_rcp_f64_e32 v[66:67], v[44:45]
	v_fma_f64 v[68:69], -v[44:45], v[66:67], 1.0
	s_delay_alu instid0(VALU_DEP_1) | instskip(NEXT) | instid1(VALU_DEP_1)
	v_fma_f64 v[66:67], v[66:67], v[68:69], v[66:67]
	v_fma_f64 v[68:69], -v[44:45], v[66:67], 1.0
	s_delay_alu instid0(VALU_DEP_1) | instskip(SKIP_1) | instid1(VALU_DEP_1)
	v_fma_f64 v[66:67], v[66:67], v[68:69], v[66:67]
	v_div_scale_f64 v[68:69], vcc_lo, v[64:65], v[30:31], v[64:65]
	v_mul_f64_e32 v[70:71], v[68:69], v[66:67]
	s_delay_alu instid0(VALU_DEP_1) | instskip(SKIP_1) | instid1(VALU_DEP_1)
	v_fma_f64 v[44:45], -v[44:45], v[70:71], v[68:69]
	s_wait_alu 0xfffd
	v_div_fmas_f64 v[44:45], v[44:45], v[66:67], v[70:71]
	s_delay_alu instid0(VALU_DEP_1) | instskip(SKIP_1) | instid1(VALU_DEP_1)
	v_div_fixup_f64 v[122:123], v[44:45], v[30:31], v[64:65]
	v_mul_f64_e32 v[30:31], v[94:95], v[94:95]
	v_div_scale_f64 v[44:45], null, v[30:31], v[30:31], -v[126:127]
	s_delay_alu instid0(VALU_DEP_1) | instskip(NEXT) | instid1(TRANS32_DEP_1)
	v_rcp_f64_e32 v[64:65], v[44:45]
	v_fma_f64 v[66:67], -v[44:45], v[64:65], 1.0
	s_delay_alu instid0(VALU_DEP_1) | instskip(NEXT) | instid1(VALU_DEP_1)
	v_fma_f64 v[64:65], v[64:65], v[66:67], v[64:65]
	v_fma_f64 v[66:67], -v[44:45], v[64:65], 1.0
	s_delay_alu instid0(VALU_DEP_1) | instskip(SKIP_1) | instid1(VALU_DEP_1)
	v_fma_f64 v[64:65], v[64:65], v[66:67], v[64:65]
	v_div_scale_f64 v[66:67], vcc_lo, -v[126:127], v[30:31], -v[126:127]
	v_mul_f64_e32 v[68:69], v[66:67], v[64:65]
	s_delay_alu instid0(VALU_DEP_1) | instskip(SKIP_1) | instid1(VALU_DEP_1)
	v_fma_f64 v[44:45], -v[44:45], v[68:69], v[66:67]
	s_wait_alu 0xfffd
	v_div_fmas_f64 v[44:45], v[44:45], v[64:65], v[68:69]
	s_delay_alu instid0(VALU_DEP_1) | instskip(SKIP_1) | instid1(VALU_DEP_1)
	v_div_fixup_f64 v[124:125], v[44:45], v[30:31], -v[126:127]
	v_div_scale_f64 v[30:31], null, v[134:135], v[134:135], v[18:19]
	v_rcp_f64_e32 v[44:45], v[30:31]
	s_delay_alu instid0(TRANS32_DEP_1) | instskip(NEXT) | instid1(VALU_DEP_1)
	v_fma_f64 v[64:65], -v[30:31], v[44:45], 1.0
	v_fma_f64 v[44:45], v[44:45], v[64:65], v[44:45]
	s_delay_alu instid0(VALU_DEP_1) | instskip(NEXT) | instid1(VALU_DEP_1)
	v_fma_f64 v[64:65], -v[30:31], v[44:45], 1.0
	v_fma_f64 v[44:45], v[44:45], v[64:65], v[44:45]
	v_div_scale_f64 v[64:65], vcc_lo, v[18:19], v[134:135], v[18:19]
	s_delay_alu instid0(VALU_DEP_1) | instskip(NEXT) | instid1(VALU_DEP_1)
	v_mul_f64_e32 v[66:67], v[64:65], v[44:45]
	v_fma_f64 v[30:31], -v[30:31], v[66:67], v[64:65]
	s_wait_alu 0xfffd
	s_delay_alu instid0(VALU_DEP_1) | instskip(SKIP_1) | instid1(VALU_DEP_2)
	v_div_fmas_f64 v[30:31], v[30:31], v[44:45], v[66:67]
	v_cmp_eq_f64_e32 vcc_lo, 1.0, v[58:59]
	v_div_fixup_f64 v[126:127], v[30:31], v[134:135], v[18:19]
	v_mov_b32_e32 v18, 0x3ff00000
	v_frexp_exp_i32_f64_e32 v30, v[58:59]
	s_wait_alu 0xfffd
	s_delay_alu instid0(VALU_DEP_2) | instskip(SKIP_2) | instid1(VALU_DEP_1)
	v_cndmask_b32_e32 v143, 0x40100000, v18, vcc_lo
	v_frexp_mant_f64_e64 v[18:19], |v[58:59]|
	s_wait_alu 0xfffe
	v_cmp_gt_f64_e32 vcc_lo, s[0:1], v[18:19]
	s_wait_alu 0xfffd
	v_cndmask_b32_e64 v31, 0, 1, vcc_lo
	v_subrev_co_ci_u32_e64 v72, null, 0, v30, vcc_lo
	s_delay_alu instid0(VALU_DEP_2) | instskip(NEXT) | instid1(VALU_DEP_1)
	v_ldexp_f64 v[18:19], v[18:19], v31
	v_add_f64_e32 v[44:45], 1.0, v[18:19]
	v_add_f64_e32 v[30:31], -1.0, v[18:19]
	s_delay_alu instid0(VALU_DEP_2) | instskip(NEXT) | instid1(VALU_DEP_1)
	v_add_f64_e32 v[64:65], -1.0, v[44:45]
	v_add_f64_e64 v[18:19], v[18:19], -v[64:65]
	v_rcp_f64_e32 v[64:65], v[44:45]
	s_delay_alu instid0(TRANS32_DEP_1) | instskip(NEXT) | instid1(VALU_DEP_1)
	v_fma_f64 v[66:67], -v[44:45], v[64:65], 1.0
	v_fma_f64 v[64:65], v[66:67], v[64:65], v[64:65]
	s_delay_alu instid0(VALU_DEP_1) | instskip(NEXT) | instid1(VALU_DEP_1)
	v_fma_f64 v[66:67], -v[44:45], v[64:65], 1.0
	v_fma_f64 v[64:65], v[66:67], v[64:65], v[64:65]
	s_delay_alu instid0(VALU_DEP_1) | instskip(NEXT) | instid1(VALU_DEP_1)
	v_mul_f64_e32 v[66:67], v[30:31], v[64:65]
	v_mul_f64_e32 v[68:69], v[44:45], v[66:67]
	s_delay_alu instid0(VALU_DEP_1) | instskip(NEXT) | instid1(VALU_DEP_1)
	v_fma_f64 v[44:45], v[66:67], v[44:45], -v[68:69]
	v_fma_f64 v[18:19], v[66:67], v[18:19], v[44:45]
	s_delay_alu instid0(VALU_DEP_1) | instskip(NEXT) | instid1(VALU_DEP_1)
	v_add_f64_e32 v[44:45], v[68:69], v[18:19]
	v_add_f64_e64 v[70:71], v[30:31], -v[44:45]
	v_add_f64_e64 v[68:69], v[44:45], -v[68:69]
	s_delay_alu instid0(VALU_DEP_2) | instskip(NEXT) | instid1(VALU_DEP_2)
	v_add_f64_e64 v[30:31], v[30:31], -v[70:71]
	v_add_f64_e64 v[18:19], v[68:69], -v[18:19]
	v_cvt_f64_i32_e32 v[68:69], v72
	s_delay_alu instid0(VALU_DEP_3) | instskip(NEXT) | instid1(VALU_DEP_1)
	v_add_f64_e64 v[30:31], v[30:31], -v[44:45]
	v_add_f64_e32 v[18:19], v[18:19], v[30:31]
	s_delay_alu instid0(VALU_DEP_1) | instskip(NEXT) | instid1(VALU_DEP_1)
	v_add_f64_e32 v[18:19], v[70:71], v[18:19]
	v_mul_f64_e32 v[18:19], v[64:65], v[18:19]
	s_delay_alu instid0(VALU_DEP_1) | instskip(NEXT) | instid1(VALU_DEP_1)
	v_add_f64_e32 v[30:31], v[66:67], v[18:19]
	v_add_f64_e64 v[44:45], v[30:31], -v[66:67]
	s_delay_alu instid0(VALU_DEP_1) | instskip(SKIP_1) | instid1(VALU_DEP_2)
	v_add_f64_e64 v[18:19], v[18:19], -v[44:45]
	v_mul_f64_e32 v[44:45], v[30:31], v[30:31]
	v_add_f64_e32 v[66:67], v[18:19], v[18:19]
	s_delay_alu instid0(VALU_DEP_2) | instskip(SKIP_1) | instid1(VALU_DEP_2)
	v_fma_f64 v[64:65], v[30:31], v[30:31], -v[44:45]
	v_ldexp_f64 v[80:81], v[18:19], 1
	v_fma_f64 v[64:65], v[30:31], v[66:67], v[64:65]
	s_delay_alu instid0(VALU_DEP_1) | instskip(NEXT) | instid1(VALU_DEP_1)
	v_add_f64_e32 v[66:67], v[44:45], v[64:65]
	v_add_f64_e64 v[44:45], v[66:67], -v[44:45]
	v_mul_f64_e32 v[88:89], v[30:31], v[66:67]
	s_delay_alu instid0(VALU_DEP_2)
	v_add_f64_e64 v[44:45], v[64:65], -v[44:45]
	v_fma_f64 v[64:65], v[66:67], s[4:5], s[2:3]
	s_mov_b32 s2, 0x3abe935a
	s_mov_b32 s3, 0x3fbe25e4
	;; [unrolled: 1-line block ×4, first 2 shown]
	s_delay_alu instid0(VALU_DEP_3) | instskip(SKIP_1) | instid1(VALU_DEP_2)
	v_fma_f64 v[94:95], v[66:67], v[30:31], -v[88:89]
	s_wait_alu 0xfffe
	v_fma_f64 v[64:65], v[66:67], v[64:65], s[2:3]
	s_mov_b32 s2, 0x47e6c9c2
	s_mov_b32 s3, 0x3fc110ef
	s_delay_alu instid0(VALU_DEP_2) | instskip(SKIP_1) | instid1(VALU_DEP_2)
	v_fma_f64 v[18:19], v[66:67], v[18:19], v[94:95]
	s_wait_alu 0xfffe
	v_fma_f64 v[64:65], v[66:67], v[64:65], s[2:3]
	s_mov_b32 s2, 0xcfa74449
	s_mov_b32 s3, 0x3fc3b13b
	s_delay_alu instid0(VALU_DEP_2) | instskip(SKIP_1) | instid1(VALU_DEP_2)
	v_fma_f64 v[18:19], v[44:45], v[30:31], v[18:19]
	s_wait_alu 0xfffe
	v_fma_f64 v[64:65], v[66:67], v[64:65], s[2:3]
	s_mov_b32 s2, 0x71bf3c30
	s_mov_b32 s3, 0x3fc745d1
	s_wait_alu 0xfffe
	s_delay_alu instid0(VALU_DEP_1) | instskip(SKIP_3) | instid1(VALU_DEP_1)
	v_fma_f64 v[64:65], v[66:67], v[64:65], s[2:3]
	s_mov_b32 s2, 0x1c7792ce
	s_mov_b32 s3, 0x3fcc71c7
	s_wait_alu 0xfffe
	v_fma_f64 v[64:65], v[66:67], v[64:65], s[2:3]
	s_mov_b32 s2, 0x924920da
	s_mov_b32 s3, 0x3fd24924
	s_wait_alu 0xfffe
	s_delay_alu instid0(VALU_DEP_1) | instskip(SKIP_3) | instid1(VALU_DEP_1)
	v_fma_f64 v[64:65], v[66:67], v[64:65], s[2:3]
	s_mov_b32 s2, 0x9999999c
	s_mov_b32 s3, 0x3fd99999
	s_wait_alu 0xfffe
	v_fma_f64 v[64:65], v[66:67], v[64:65], s[2:3]
	s_mov_b32 s3, 0x3fe62e42
	s_mov_b32 s2, 0xfefa39ef
	s_wait_alu 0xfffe
	v_mul_f64_e32 v[70:71], s[2:3], v[68:69]
	s_delay_alu instid0(VALU_DEP_1) | instskip(SKIP_1) | instid1(VALU_DEP_1)
	v_fma_f64 v[72:73], v[68:69], s[2:3], -v[70:71]
	s_mov_b32 s3, 0xbfe62e42
	v_fma_f64 v[68:69], v[68:69], s[4:5], v[72:73]
	s_mov_b32 s5, 0xbc7abc9e
	s_delay_alu instid0(VALU_DEP_1) | instskip(NEXT) | instid1(VALU_DEP_1)
	v_add_f64_e32 v[72:73], v[70:71], v[68:69]
	v_add_f64_e64 v[70:71], v[72:73], -v[70:71]
	s_delay_alu instid0(VALU_DEP_1) | instskip(SKIP_2) | instid1(VALU_DEP_1)
	v_add_f64_e64 v[68:69], v[68:69], -v[70:71]
	v_ldexp_f64 v[70:71], v[30:31], 1
	v_add_f64_e32 v[30:31], v[88:89], v[18:19]
	v_add_f64_e64 v[88:89], v[30:31], -v[88:89]
	s_delay_alu instid0(VALU_DEP_1) | instskip(SKIP_1) | instid1(VALU_DEP_1)
	v_add_f64_e64 v[18:19], v[18:19], -v[88:89]
	v_mul_f64_e32 v[88:89], v[66:67], v[64:65]
	v_fma_f64 v[66:67], v[66:67], v[64:65], -v[88:89]
	s_delay_alu instid0(VALU_DEP_1) | instskip(NEXT) | instid1(VALU_DEP_1)
	v_fma_f64 v[44:45], v[44:45], v[64:65], v[66:67]
	v_add_f64_e32 v[64:65], v[88:89], v[44:45]
	s_delay_alu instid0(VALU_DEP_1) | instskip(NEXT) | instid1(VALU_DEP_1)
	v_add_f64_e64 v[66:67], v[64:65], -v[88:89]
	v_add_f64_e64 v[44:45], v[44:45], -v[66:67]
	v_add_f64_e32 v[66:67], s[0:1], v[64:65]
	s_mov_b32 s1, 0xbfe55555
	s_wait_alu 0xfffe
	s_delay_alu instid0(VALU_DEP_1) | instskip(SKIP_3) | instid1(VALU_DEP_3)
	v_add_f64_e32 v[88:89], s[0:1], v[66:67]
	s_mov_b32 s0, 0xd5df274d
	s_mov_b32 s1, 0x3c8543b0
	s_wait_alu 0xfffe
	v_add_f64_e32 v[44:45], s[0:1], v[44:45]
	s_mov_b32 s0, 0x652b82fe
	s_mov_b32 s1, 0x3ff71547
	s_delay_alu instid0(VALU_DEP_2) | instskip(NEXT) | instid1(VALU_DEP_1)
	v_add_f64_e64 v[64:65], v[64:65], -v[88:89]
	v_add_f64_e32 v[44:45], v[44:45], v[64:65]
	s_delay_alu instid0(VALU_DEP_1) | instskip(NEXT) | instid1(VALU_DEP_1)
	v_add_f64_e32 v[64:65], v[66:67], v[44:45]
	v_add_f64_e64 v[66:67], v[66:67], -v[64:65]
	s_delay_alu instid0(VALU_DEP_1) | instskip(SKIP_1) | instid1(VALU_DEP_1)
	v_add_f64_e32 v[44:45], v[44:45], v[66:67]
	v_mul_f64_e32 v[66:67], v[30:31], v[64:65]
	v_fma_f64 v[88:89], v[30:31], v[64:65], -v[66:67]
	s_delay_alu instid0(VALU_DEP_1) | instskip(NEXT) | instid1(VALU_DEP_1)
	v_fma_f64 v[30:31], v[30:31], v[44:45], v[88:89]
	v_fma_f64 v[18:19], v[18:19], v[64:65], v[30:31]
	s_delay_alu instid0(VALU_DEP_1) | instskip(NEXT) | instid1(VALU_DEP_1)
	v_add_f64_e32 v[30:31], v[66:67], v[18:19]
	v_add_f64_e64 v[44:45], v[30:31], -v[66:67]
	s_delay_alu instid0(VALU_DEP_1) | instskip(SKIP_1) | instid1(VALU_DEP_2)
	v_add_f64_e64 v[18:19], v[18:19], -v[44:45]
	v_add_f64_e32 v[44:45], v[70:71], v[30:31]
	v_add_f64_e32 v[18:19], v[80:81], v[18:19]
	s_delay_alu instid0(VALU_DEP_2) | instskip(NEXT) | instid1(VALU_DEP_1)
	v_add_f64_e64 v[64:65], v[44:45], -v[70:71]
	v_add_f64_e64 v[30:31], v[30:31], -v[64:65]
	s_delay_alu instid0(VALU_DEP_1) | instskip(NEXT) | instid1(VALU_DEP_1)
	v_add_f64_e32 v[18:19], v[18:19], v[30:31]
	v_add_f64_e32 v[30:31], v[44:45], v[18:19]
	s_delay_alu instid0(VALU_DEP_1) | instskip(NEXT) | instid1(VALU_DEP_1)
	v_add_f64_e64 v[44:45], v[30:31], -v[44:45]
	v_add_f64_e64 v[18:19], v[18:19], -v[44:45]
	v_add_f64_e32 v[44:45], v[72:73], v[30:31]
	s_delay_alu instid0(VALU_DEP_1) | instskip(NEXT) | instid1(VALU_DEP_1)
	v_add_f64_e64 v[64:65], v[44:45], -v[72:73]
	v_add_f64_e64 v[66:67], v[44:45], -v[64:65]
	;; [unrolled: 1-line block ×3, first 2 shown]
	v_add_f64_e32 v[64:65], v[68:69], v[18:19]
	s_delay_alu instid0(VALU_DEP_3) | instskip(NEXT) | instid1(VALU_DEP_1)
	v_add_f64_e64 v[66:67], v[72:73], -v[66:67]
	v_add_f64_e32 v[30:31], v[30:31], v[66:67]
	s_delay_alu instid0(VALU_DEP_3) | instskip(NEXT) | instid1(VALU_DEP_2)
	v_add_f64_e64 v[66:67], v[64:65], -v[68:69]
	v_add_f64_e32 v[30:31], v[64:65], v[30:31]
	s_delay_alu instid0(VALU_DEP_2) | instskip(SKIP_1) | instid1(VALU_DEP_3)
	v_add_f64_e64 v[70:71], v[64:65], -v[66:67]
	v_add_f64_e64 v[18:19], v[18:19], -v[66:67]
	v_add_f64_e32 v[64:65], v[44:45], v[30:31]
	s_delay_alu instid0(VALU_DEP_3) | instskip(NEXT) | instid1(VALU_DEP_2)
	v_add_f64_e64 v[68:69], v[68:69], -v[70:71]
                                        ; implicit-def: $vgpr70_vgpr71
	v_add_f64_e64 v[44:45], v[64:65], -v[44:45]
	s_delay_alu instid0(VALU_DEP_2) | instskip(NEXT) | instid1(VALU_DEP_2)
	v_add_f64_e32 v[18:19], v[18:19], v[68:69]
	v_add_f64_e64 v[30:31], v[30:31], -v[44:45]
	s_delay_alu instid0(VALU_DEP_1) | instskip(NEXT) | instid1(VALU_DEP_1)
	v_add_f64_e32 v[18:19], v[18:19], v[30:31]
	v_add_f64_e32 v[30:31], v[64:65], v[18:19]
	s_delay_alu instid0(VALU_DEP_1) | instskip(NEXT) | instid1(VALU_DEP_1)
	v_add_f64_e64 v[44:45], v[30:31], -v[64:65]
	v_add_f64_e64 v[18:19], v[18:19], -v[44:45]
	v_mul_f64_e32 v[44:45], v[142:143], v[30:31]
	s_delay_alu instid0(VALU_DEP_1) | instskip(SKIP_1) | instid1(VALU_DEP_2)
	v_fma_f64 v[30:31], v[142:143], v[30:31], -v[44:45]
	v_cmp_class_f64_e64 vcc_lo, v[44:45], 0x204
	v_fma_f64 v[18:19], v[142:143], v[18:19], v[30:31]
	s_delay_alu instid0(VALU_DEP_1) | instskip(NEXT) | instid1(VALU_DEP_1)
	v_add_f64_e32 v[30:31], v[44:45], v[18:19]
	v_add_f64_e64 v[64:65], v[30:31], -v[44:45]
	s_wait_alu 0xfffd
	v_cndmask_b32_e32 v31, v31, v45, vcc_lo
	s_delay_alu instid0(VALU_DEP_2) | instskip(SKIP_1) | instid1(VALU_DEP_1)
	v_add_f64_e64 v[18:19], v[18:19], -v[64:65]
	v_cndmask_b32_e32 v30, v30, v44, vcc_lo
	v_cmp_neq_f64_e64 vcc_lo, 0x7ff00000, |v[30:31]|
	s_wait_alu 0xfffd
	s_delay_alu instid0(VALU_DEP_3)
	v_cndmask_b32_e32 v19, 0, v19, vcc_lo
	s_wait_alu 0xfffe
	v_mul_f64_e32 v[44:45], s[0:1], v[30:31]
	s_mov_b32 s0, 0xfca7ab0c
	s_mov_b32 s1, 0x3e928af3
	v_cndmask_b32_e32 v18, 0, v18, vcc_lo
	v_cmp_nlt_f64_e32 vcc_lo, 0x40900000, v[30:31]
	s_delay_alu instid0(VALU_DEP_3) | instskip(NEXT) | instid1(VALU_DEP_1)
	v_rndne_f64_e32 v[44:45], v[44:45]
	v_fma_f64 v[64:65], v[44:45], s[2:3], v[30:31]
	s_mov_b32 s2, 0x6a5dcb37
	s_mov_b32 s3, 0x3e5ade15
	s_delay_alu instid0(VALU_DEP_1) | instskip(SKIP_2) | instid1(VALU_DEP_2)
	v_fma_f64 v[64:65], v[44:45], s[4:5], v[64:65]
	v_cvt_i32_f64_e32 v44, v[44:45]
	s_wait_alu 0xfffe
	v_fma_f64 v[66:67], v[64:65], s[2:3], s[0:1]
	s_mov_b32 s0, 0x623fde64
	s_mov_b32 s1, 0x3ec71dee
	s_wait_alu 0xfffe
	s_delay_alu instid0(VALU_DEP_1) | instskip(SKIP_3) | instid1(VALU_DEP_1)
	v_fma_f64 v[66:67], v[64:65], v[66:67], s[0:1]
	s_mov_b32 s0, 0x7c89e6b0
	s_mov_b32 s1, 0x3efa0199
	s_wait_alu 0xfffe
	v_fma_f64 v[66:67], v[64:65], v[66:67], s[0:1]
	s_mov_b32 s0, 0x14761f6e
	s_mov_b32 s1, 0x3f2a01a0
	s_wait_alu 0xfffe
	s_delay_alu instid0(VALU_DEP_1) | instskip(SKIP_3) | instid1(VALU_DEP_1)
	v_fma_f64 v[66:67], v[64:65], v[66:67], s[0:1]
	s_mov_b32 s0, 0x1852b7b0
	s_mov_b32 s1, 0x3f56c16c
	;; [unrolled: 9-line block ×4, first 2 shown]
	s_wait_alu 0xfffe
	v_fma_f64 v[66:67], v[64:65], v[66:67], s[0:1]
	v_cmp_ngt_f64_e64 s0, 0xc090cc00, v[30:31]
	v_cmp_gt_f64_e64 s1, 0, v[58:59]
	s_delay_alu instid0(VALU_DEP_3) | instskip(NEXT) | instid1(VALU_DEP_1)
	v_fma_f64 v[66:67], v[64:65], v[66:67], 1.0
	v_fma_f64 v[64:65], v[64:65], v[66:67], 1.0
	s_delay_alu instid0(VALU_DEP_1) | instskip(SKIP_1) | instid1(VALU_DEP_1)
	v_ldexp_f64 v[44:45], v[64:65], v44
	s_wait_alu 0xfffd
	v_cndmask_b32_e32 v45, 0x7ff00000, v45, vcc_lo
	s_and_b32 vcc_lo, s0, vcc_lo
	s_wait_alu 0xfffe
	s_delay_alu instid0(VALU_DEP_2) | instskip(NEXT) | instid1(VALU_DEP_2)
	v_cndmask_b32_e32 v30, 0, v44, vcc_lo
	v_cndmask_b32_e64 v31, 0, v45, s0
	s_delay_alu instid0(VALU_DEP_1) | instskip(SKIP_2) | instid1(VALU_DEP_2)
	v_fma_f64 v[18:19], v[30:31], v[18:19], v[30:31]
	v_cmp_class_f64_e64 vcc_lo, v[30:31], 0x204
	s_wait_alu 0xfffd
	v_dual_cndmask_b32 v64, v18, v30 :: v_dual_cndmask_b32 v65, v19, v31
	v_trunc_f64_e32 v[18:19], v[142:143]
	s_delay_alu instid0(VALU_DEP_1) | instskip(SKIP_2) | instid1(VALU_DEP_2)
	v_cmp_eq_f64_e32 vcc_lo, v[18:19], v[142:143]
	v_mul_f64_e32 v[18:19], 0.5, v[142:143]
	v_mul_f64_e32 v[142:143], v[134:135], v[134:135]
	v_trunc_f64_e32 v[30:31], v[18:19]
	s_delay_alu instid0(VALU_DEP_1) | instskip(SKIP_2) | instid1(VALU_DEP_1)
	v_cmp_neq_f64_e64 s0, v[30:31], v[18:19]
	s_wait_alu 0xfffd
	v_cndmask_b32_e32 v30, 0, v64, vcc_lo
	v_cndmask_b32_e64 v30, v64, v30, s1
	s_and_b32 s0, vcc_lo, s0
	s_wait_alu 0xfffe
	v_cndmask_b32_e64 v18, 0x3ff00000, v59, s0
	v_cndmask_b32_e64 v31, 0, v59, s0
	s_delay_alu instid0(VALU_DEP_2) | instskip(NEXT) | instid1(VALU_DEP_1)
	v_bfi_b32 v18, 0x7fffffff, v65, v18
	v_cndmask_b32_e32 v19, 0x7ff80000, v18, vcc_lo
	v_cmp_eq_f64_e32 vcc_lo, 0, v[58:59]
	s_delay_alu instid0(VALU_DEP_2)
	v_cndmask_b32_e64 v18, v18, v19, s1
	v_cmp_class_f64_e64 s1, v[58:59], 0x204
	s_wait_alu 0xfffd
	v_cndmask_b32_e64 v19, 0x7ff00000, 0, vcc_lo
	s_or_b32 s1, vcc_lo, s1
	v_cmp_o_f64_e32 vcc_lo, v[58:59], v[58:59]
	s_delay_alu instid0(VALU_DEP_2) | instskip(SKIP_1) | instid1(VALU_DEP_1)
	v_bfi_b32 v19, 0x7fffffff, v19, v31
	s_wait_alu 0xfffe
	v_cndmask_b32_e64 v19, v18, v19, s1
	v_cndmask_b32_e64 v18, v30, 0, s1
	s_mov_b32 s0, 0xe2308c3a
	s_mov_b32 s1, 0x3e45798e
	s_wait_alu 0xfffd
	s_delay_alu instid0(VALU_DEP_1) | instskip(SKIP_1) | instid1(VALU_DEP_1)
	v_cndmask_b32_e32 v18, 0, v18, vcc_lo
	v_cndmask_b32_e32 v19, 0x7ff80000, v19, vcc_lo
	v_mul_f64_e32 v[18:19], v[112:113], v[18:19]
	s_delay_alu instid0(VALU_DEP_1) | instskip(NEXT) | instid1(VALU_DEP_1)
	v_mul_f64_e32 v[18:19], v[136:137], v[18:19]
	v_div_scale_f64 v[30:31], null, v[142:143], v[142:143], v[18:19]
	s_delay_alu instid0(VALU_DEP_1) | instskip(NEXT) | instid1(TRANS32_DEP_1)
	v_rcp_f64_e32 v[44:45], v[30:31]
	v_fma_f64 v[64:65], -v[30:31], v[44:45], 1.0
	s_delay_alu instid0(VALU_DEP_1) | instskip(NEXT) | instid1(VALU_DEP_1)
	v_fma_f64 v[44:45], v[44:45], v[64:65], v[44:45]
	v_fma_f64 v[64:65], -v[30:31], v[44:45], 1.0
	s_delay_alu instid0(VALU_DEP_1) | instskip(SKIP_1) | instid1(VALU_DEP_1)
	v_fma_f64 v[44:45], v[44:45], v[64:65], v[44:45]
	v_div_scale_f64 v[64:65], vcc_lo, v[18:19], v[142:143], v[18:19]
	v_mul_f64_e32 v[66:67], v[64:65], v[44:45]
	s_delay_alu instid0(VALU_DEP_1) | instskip(SKIP_1) | instid1(VALU_DEP_1)
	v_fma_f64 v[30:31], -v[30:31], v[66:67], v[64:65]
	s_wait_alu 0xfffd
	v_div_fmas_f64 v[30:31], v[30:31], v[44:45], v[66:67]
	s_delay_alu instid0(VALU_DEP_1) | instskip(NEXT) | instid1(VALU_DEP_1)
	v_div_fixup_f64 v[18:19], v[30:31], v[142:143], v[18:19]
	v_add_f64_e64 v[18:19], v[126:127], -v[18:19]
	s_delay_alu instid0(VALU_DEP_1) | instskip(NEXT) | instid1(VALU_DEP_1)
	v_mul_f64_e32 v[18:19], v[132:133], v[18:19]
	v_mul_f64_e32 v[18:19], v[124:125], v[18:19]
	s_delay_alu instid0(VALU_DEP_1) | instskip(NEXT) | instid1(VALU_DEP_1)
	v_fma_f64 v[30:31], v[140:141], v[18:19], v[144:145]
	v_add_f64_e64 v[30:31], -v[116:117], -v[30:31]
	s_delay_alu instid0(VALU_DEP_1) | instskip(NEXT) | instid1(VALU_DEP_1)
	v_fma_f64 v[18:19], -v[140:141], v[18:19], v[30:31]
	v_mul_f64_e32 v[18:19], v[130:131], v[18:19]
	s_delay_alu instid0(VALU_DEP_1) | instskip(SKIP_1) | instid1(VALU_DEP_1)
	v_fma_f64 v[64:65], v[122:123], v[138:139], v[18:19]
	s_wait_alu 0xfffe
	v_cmp_ngt_f64_e64 s0, |v[64:65]|, s[0:1]
	s_and_saveexec_b32 s1, s0
	s_wait_alu 0xfffe
	s_xor_b32 s0, exec_lo, s1
	s_cbranch_execz .LBB0_67
; %bb.66:
	v_mul_f64_e32 v[70:71], s[12:13], v[120:121]
                                        ; implicit-def: $vgpr64_vgpr65
                                        ; implicit-def: $vgpr120_vgpr121
.LBB0_67:
	s_wait_alu 0xfffe
	s_or_saveexec_b32 s1, s0
	v_mul_f64_e32 v[66:67], v[154:155], v[102:103]
	v_mul_f64_e32 v[150:151], v[132:133], v[128:129]
	s_wait_alu 0xfffe
	s_xor_b32 exec_lo, exec_lo, s1
	s_cbranch_execz .LBB0_69
; %bb.68:
	v_mul_f64_e32 v[18:19], s[12:13], v[64:65]
	s_mov_b32 s2, 0x652b82fe
	s_mov_b32 s3, 0x3ff71547
	s_mov_b32 s4, 0x6a5dcb37
	s_mov_b32 s5, 0x3e5ade15
	s_wait_alu 0xfffe
	s_delay_alu instid0(VALU_DEP_1) | instskip(SKIP_4) | instid1(VALU_DEP_3)
	v_mul_f64_e32 v[30:31], s[2:3], v[18:19]
	s_mov_b32 s2, 0xfefa39ef
	s_mov_b32 s3, 0xbfe62e42
	v_cmp_nlt_f64_e32 vcc_lo, 0x40900000, v[18:19]
	v_cmp_ngt_f64_e64 s0, 0xc090cc00, v[18:19]
	v_rndne_f64_e32 v[30:31], v[30:31]
	s_wait_alu 0xfffe
	s_delay_alu instid0(VALU_DEP_1) | instskip(SKIP_4) | instid1(VALU_DEP_2)
	v_fma_f64 v[44:45], v[30:31], s[2:3], v[18:19]
	s_mov_b32 s2, 0x3b39803f
	s_mov_b32 s3, 0xbc7abc9e
	v_cvt_i32_f64_e32 v70, v[30:31]
	s_wait_alu 0xfffe
	v_fma_f64 v[44:45], v[30:31], s[2:3], v[44:45]
	s_mov_b32 s2, 0xfca7ab0c
	s_mov_b32 s3, 0x3e928af3
	s_wait_alu 0xfffe
	s_delay_alu instid0(VALU_DEP_1) | instskip(SKIP_3) | instid1(VALU_DEP_1)
	v_fma_f64 v[68:69], v[44:45], s[4:5], s[2:3]
	s_mov_b32 s2, 0x623fde64
	s_mov_b32 s3, 0x3ec71dee
	s_wait_alu 0xfffe
	v_fma_f64 v[68:69], v[44:45], v[68:69], s[2:3]
	s_mov_b32 s2, 0x7c89e6b0
	s_mov_b32 s3, 0x3efa0199
	s_wait_alu 0xfffe
	s_delay_alu instid0(VALU_DEP_1) | instskip(SKIP_3) | instid1(VALU_DEP_1)
	v_fma_f64 v[68:69], v[44:45], v[68:69], s[2:3]
	s_mov_b32 s2, 0x14761f6e
	s_mov_b32 s3, 0x3f2a01a0
	;; [unrolled: 9-line block ×4, first 2 shown]
	s_wait_alu 0xfffe
	v_fma_f64 v[68:69], v[44:45], v[68:69], s[2:3]
	s_mov_b32 s2, 11
	s_mov_b32 s3, 0x3fe00000
	s_wait_alu 0xfffe
	s_delay_alu instid0(VALU_DEP_1) | instskip(NEXT) | instid1(VALU_DEP_1)
	v_fma_f64 v[68:69], v[44:45], v[68:69], s[2:3]
	v_fma_f64 v[68:69], v[44:45], v[68:69], 1.0
	s_delay_alu instid0(VALU_DEP_1) | instskip(NEXT) | instid1(VALU_DEP_1)
	v_fma_f64 v[30:31], v[44:45], v[68:69], 1.0
	v_ldexp_f64 v[30:31], v[30:31], v70
	s_delay_alu instid0(VALU_DEP_1) | instskip(SKIP_1) | instid1(VALU_DEP_1)
	v_add_f64_e32 v[30:31], -1.0, v[30:31]
	s_wait_alu 0xfffd
	v_cndmask_b32_e32 v31, 0x7ff00000, v31, vcc_lo
	s_and_b32 vcc_lo, s0, vcc_lo
	s_wait_alu 0xfffe
	s_delay_alu instid0(VALU_DEP_2) | instskip(NEXT) | instid1(VALU_DEP_2)
	v_cndmask_b32_e32 v18, 0, v30, vcc_lo
	v_cndmask_b32_e64 v19, 0xbff00000, v31, s0
	s_delay_alu instid0(VALU_DEP_1) | instskip(NEXT) | instid1(VALU_DEP_1)
	v_mul_f64_e32 v[18:19], v[120:121], v[18:19]
	v_div_scale_f64 v[30:31], null, v[64:65], v[64:65], v[18:19]
	s_delay_alu instid0(VALU_DEP_1) | instskip(NEXT) | instid1(TRANS32_DEP_1)
	v_rcp_f64_e32 v[44:45], v[30:31]
	v_fma_f64 v[68:69], -v[30:31], v[44:45], 1.0
	s_delay_alu instid0(VALU_DEP_1) | instskip(NEXT) | instid1(VALU_DEP_1)
	v_fma_f64 v[44:45], v[44:45], v[68:69], v[44:45]
	v_fma_f64 v[68:69], -v[30:31], v[44:45], 1.0
	s_delay_alu instid0(VALU_DEP_1) | instskip(SKIP_1) | instid1(VALU_DEP_1)
	v_fma_f64 v[44:45], v[44:45], v[68:69], v[44:45]
	v_div_scale_f64 v[68:69], vcc_lo, v[18:19], v[64:65], v[18:19]
	v_mul_f64_e32 v[70:71], v[68:69], v[44:45]
	s_delay_alu instid0(VALU_DEP_1) | instskip(SKIP_1) | instid1(VALU_DEP_1)
	v_fma_f64 v[30:31], -v[30:31], v[70:71], v[68:69]
	s_wait_alu 0xfffd
	v_div_fmas_f64 v[30:31], v[30:31], v[44:45], v[70:71]
	s_delay_alu instid0(VALU_DEP_1)
	v_div_fixup_f64 v[70:71], v[30:31], v[64:65], v[18:19]
.LBB0_69:
	s_or_b32 exec_lo, exec_lo, s1
	v_add_f64_e32 v[64:65], v[58:59], v[108:109]
	v_mul_f64_e32 v[18:19], v[106:107], v[108:109]
	s_mov_b32 s0, 0x47ae147b
	s_mov_b32 s1, 0x3f847ae1
	;; [unrolled: 1-line block ×4, first 2 shown]
	v_mul_f64_e32 v[118:119], v[16:17], v[16:17]
	s_delay_alu instid0(VALU_DEP_3) | instskip(NEXT) | instid1(VALU_DEP_1)
	v_mul_f64_e32 v[140:141], v[64:65], v[64:65]
	v_div_scale_f64 v[30:31], null, v[140:141], v[140:141], v[18:19]
	v_mul_f64_e32 v[64:65], v[64:65], v[140:141]
	s_delay_alu instid0(VALU_DEP_2) | instskip(NEXT) | instid1(TRANS32_DEP_1)
	v_rcp_f64_e32 v[44:45], v[30:31]
	v_fma_f64 v[68:69], -v[30:31], v[44:45], 1.0
	s_delay_alu instid0(VALU_DEP_1) | instskip(NEXT) | instid1(VALU_DEP_1)
	v_fma_f64 v[44:45], v[44:45], v[68:69], v[44:45]
	v_fma_f64 v[68:69], -v[30:31], v[44:45], 1.0
	s_delay_alu instid0(VALU_DEP_1) | instskip(SKIP_1) | instid1(VALU_DEP_1)
	v_fma_f64 v[44:45], v[44:45], v[68:69], v[44:45]
	v_div_scale_f64 v[68:69], vcc_lo, v[18:19], v[140:141], v[18:19]
	v_mul_f64_e32 v[72:73], v[68:69], v[44:45]
	s_delay_alu instid0(VALU_DEP_1) | instskip(SKIP_1) | instid1(VALU_DEP_1)
	v_fma_f64 v[30:31], -v[30:31], v[72:73], v[68:69]
	s_wait_alu 0xfffd
	v_div_fmas_f64 v[30:31], v[30:31], v[44:45], v[72:73]
	s_delay_alu instid0(VALU_DEP_1) | instskip(NEXT) | instid1(VALU_DEP_1)
	v_div_fixup_f64 v[18:19], v[30:31], v[140:141], v[18:19]
	v_add_f64_e32 v[148:149], 1.0, v[18:19]
	s_delay_alu instid0(VALU_DEP_1) | instskip(NEXT) | instid1(VALU_DEP_1)
	v_div_scale_f64 v[18:19], null, v[148:149], v[148:149], 1.0
	v_rcp_f64_e32 v[30:31], v[18:19]
	s_delay_alu instid0(TRANS32_DEP_1) | instskip(NEXT) | instid1(VALU_DEP_1)
	v_fma_f64 v[44:45], -v[18:19], v[30:31], 1.0
	v_fma_f64 v[30:31], v[30:31], v[44:45], v[30:31]
	s_delay_alu instid0(VALU_DEP_1) | instskip(NEXT) | instid1(VALU_DEP_1)
	v_fma_f64 v[44:45], -v[18:19], v[30:31], 1.0
	v_fma_f64 v[30:31], v[30:31], v[44:45], v[30:31]
	v_div_scale_f64 v[44:45], vcc_lo, 1.0, v[148:149], 1.0
	s_delay_alu instid0(VALU_DEP_1) | instskip(NEXT) | instid1(VALU_DEP_1)
	v_mul_f64_e32 v[68:69], v[44:45], v[30:31]
	v_fma_f64 v[18:19], -v[18:19], v[68:69], v[44:45]
	s_wait_alu 0xfffd
	s_delay_alu instid0(VALU_DEP_1) | instskip(SKIP_1) | instid1(VALU_DEP_2)
	v_div_fmas_f64 v[18:19], v[18:19], v[30:31], v[68:69]
	v_ldexp_f64 v[30:31], v[58:59], -2
	v_div_fixup_f64 v[138:139], v[18:19], v[148:149], 1.0
	v_add_f64_e32 v[18:19], 0xc02e0000, v[2:3]
	s_wait_alu 0xfffe
	s_delay_alu instid0(VALU_DEP_1)
	v_cmp_lt_f64_e64 s33, |v[18:19]|, s[0:1]
	s_mov_b32 s0, 0x652b82fe
	s_mov_b32 s1, 0x3ff71547
	v_cndmask_b32_e64 v117, v19, 0x3f847ae1, s33
	v_cndmask_b32_e64 v116, v18, 0x47ae147b, s33
	v_mul_f64_e32 v[18:19], 4.0, v[54:55]
	s_delay_alu instid0(VALU_DEP_2) | instskip(NEXT) | instid1(VALU_DEP_2)
	v_mul_f64_e32 v[44:45], v[116:117], v[184:185]
	v_mul_f64_e32 v[18:19], v[18:19], v[118:119]
	s_delay_alu instid0(VALU_DEP_2) | instskip(NEXT) | instid1(VALU_DEP_1)
	v_div_scale_f64 v[68:69], null, v[146:147], v[146:147], v[44:45]
	v_rcp_f64_e32 v[72:73], v[68:69]
	s_delay_alu instid0(TRANS32_DEP_1) | instskip(NEXT) | instid1(VALU_DEP_1)
	v_fma_f64 v[80:81], -v[68:69], v[72:73], 1.0
	v_fma_f64 v[72:73], v[72:73], v[80:81], v[72:73]
	s_delay_alu instid0(VALU_DEP_1) | instskip(NEXT) | instid1(VALU_DEP_1)
	v_fma_f64 v[80:81], -v[68:69], v[72:73], 1.0
	v_fma_f64 v[72:73], v[72:73], v[80:81], v[72:73]
	v_div_scale_f64 v[80:81], vcc_lo, v[44:45], v[146:147], v[44:45]
	s_delay_alu instid0(VALU_DEP_1) | instskip(NEXT) | instid1(VALU_DEP_1)
	v_mul_f64_e32 v[88:89], v[80:81], v[72:73]
	v_fma_f64 v[68:69], -v[68:69], v[88:89], v[80:81]
	s_wait_alu 0xfffd
	s_delay_alu instid0(VALU_DEP_1) | instskip(NEXT) | instid1(VALU_DEP_1)
	v_div_fmas_f64 v[68:69], v[68:69], v[72:73], v[88:89]
	v_div_fixup_f64 v[44:45], v[68:69], v[146:147], v[44:45]
	s_wait_alu 0xfffe
	s_delay_alu instid0(VALU_DEP_1) | instskip(SKIP_3) | instid1(VALU_DEP_2)
	v_mul_f64_e32 v[68:69], s[0:1], v[44:45]
	s_mov_b32 s0, 0xfefa39ef
	s_mov_b32 s1, 0xbfe62e42
	v_cmp_nlt_f64_e32 vcc_lo, 0x40900000, v[44:45]
	v_rndne_f64_e32 v[68:69], v[68:69]
	s_wait_alu 0xfffe
	s_delay_alu instid0(VALU_DEP_1) | instskip(SKIP_3) | instid1(VALU_DEP_1)
	v_fma_f64 v[72:73], v[68:69], s[0:1], v[44:45]
	s_mov_b32 s0, 0x3b39803f
	s_mov_b32 s1, 0xbc7abc9e
	s_wait_alu 0xfffe
	v_fma_f64 v[72:73], v[68:69], s[0:1], v[72:73]
	s_mov_b32 s0, 0xfca7ab0c
	s_mov_b32 s1, 0x3e928af3
	v_cvt_i32_f64_e32 v68, v[68:69]
	s_wait_alu 0xfffe
	s_delay_alu instid0(VALU_DEP_2) | instskip(SKIP_3) | instid1(VALU_DEP_1)
	v_fma_f64 v[80:81], v[72:73], s[2:3], s[0:1]
	s_mov_b32 s0, 0x623fde64
	s_mov_b32 s1, 0x3ec71dee
	s_wait_alu 0xfffe
	v_fma_f64 v[80:81], v[72:73], v[80:81], s[0:1]
	s_mov_b32 s0, 0x7c89e6b0
	s_mov_b32 s1, 0x3efa0199
	s_wait_alu 0xfffe
	s_delay_alu instid0(VALU_DEP_1) | instskip(SKIP_3) | instid1(VALU_DEP_1)
	v_fma_f64 v[80:81], v[72:73], v[80:81], s[0:1]
	s_mov_b32 s0, 0x14761f6e
	s_mov_b32 s1, 0x3f2a01a0
	s_wait_alu 0xfffe
	v_fma_f64 v[80:81], v[72:73], v[80:81], s[0:1]
	s_mov_b32 s0, 0x1852b7b0
	s_mov_b32 s1, 0x3f56c16c
	s_wait_alu 0xfffe
	s_delay_alu instid0(VALU_DEP_1) | instskip(SKIP_3) | instid1(VALU_DEP_1)
	;; [unrolled: 9-line block ×3, first 2 shown]
	v_fma_f64 v[80:81], v[72:73], v[80:81], s[0:1]
	s_mov_b32 s0, 0x55555511
	s_mov_b32 s1, 0x3fc55555
	s_wait_alu 0xfffe
	v_fma_f64 v[80:81], v[72:73], v[80:81], s[0:1]
	s_mov_b32 s0, 11
	s_mov_b32 s1, 0x3fe00000
	s_wait_alu 0xfffe
	s_delay_alu instid0(VALU_DEP_1) | instskip(SKIP_1) | instid1(VALU_DEP_2)
	v_fma_f64 v[80:81], v[72:73], v[80:81], s[0:1]
	v_cmp_ngt_f64_e64 s0, 0xc090cc00, v[44:45]
	v_fma_f64 v[80:81], v[72:73], v[80:81], 1.0
	s_delay_alu instid0(VALU_DEP_1) | instskip(NEXT) | instid1(VALU_DEP_1)
	v_fma_f64 v[72:73], v[72:73], v[80:81], 1.0
	v_ldexp_f64 v[68:69], v[72:73], v68
	s_wait_alu 0xfffd
	s_delay_alu instid0(VALU_DEP_1) | instskip(SKIP_2) | instid1(VALU_DEP_2)
	v_cndmask_b32_e32 v69, 0x7ff00000, v69, vcc_lo
	s_and_b32 vcc_lo, s0, vcc_lo
	s_wait_alu 0xfffe
	v_cndmask_b32_e32 v120, 0, v68, vcc_lo
	s_delay_alu instid0(VALU_DEP_2) | instskip(SKIP_2) | instid1(VALU_DEP_1)
	v_cndmask_b32_e64 v121, 0, v69, s0
	s_mov_b32 s0, 0xe2308c3a
	s_mov_b32 s1, 0x3e45798e
	v_fma_f64 v[124:125], v[30:31], v[120:121], -v[38:39]
	v_add_f64_e32 v[122:123], -1.0, v[120:121]
	s_delay_alu instid0(VALU_DEP_2) | instskip(NEXT) | instid1(VALU_DEP_2)
	v_mul_f64_e32 v[128:129], v[18:19], v[124:125]
	v_mul_f64_e32 v[126:127], v[146:147], v[122:123]
	s_delay_alu instid0(VALU_DEP_2) | instskip(NEXT) | instid1(VALU_DEP_1)
	v_mul_f64_e32 v[18:19], v[116:117], v[128:129]
	v_mul_f64_e32 v[18:19], v[48:49], v[18:19]
	s_delay_alu instid0(VALU_DEP_1) | instskip(NEXT) | instid1(VALU_DEP_1)
	v_mul_f64_e32 v[18:19], v[46:47], v[18:19]
	v_mul_f64_e32 v[18:19], v[50:51], v[18:19]
	s_delay_alu instid0(VALU_DEP_1) | instskip(NEXT) | instid1(VALU_DEP_1)
	v_mul_f64_e32 v[18:19], v[52:53], v[18:19]
	v_div_scale_f64 v[30:31], null, v[126:127], v[126:127], v[18:19]
	s_delay_alu instid0(VALU_DEP_1) | instskip(NEXT) | instid1(TRANS32_DEP_1)
	v_rcp_f64_e32 v[44:45], v[30:31]
	v_fma_f64 v[68:69], -v[30:31], v[44:45], 1.0
	s_delay_alu instid0(VALU_DEP_1) | instskip(NEXT) | instid1(VALU_DEP_1)
	v_fma_f64 v[44:45], v[44:45], v[68:69], v[44:45]
	v_fma_f64 v[68:69], -v[30:31], v[44:45], 1.0
	s_delay_alu instid0(VALU_DEP_1) | instskip(SKIP_1) | instid1(VALU_DEP_1)
	v_fma_f64 v[44:45], v[44:45], v[68:69], v[44:45]
	v_div_scale_f64 v[68:69], vcc_lo, v[18:19], v[126:127], v[18:19]
	v_mul_f64_e32 v[72:73], v[68:69], v[44:45]
	s_delay_alu instid0(VALU_DEP_1) | instskip(SKIP_1) | instid1(VALU_DEP_1)
	v_fma_f64 v[30:31], -v[30:31], v[72:73], v[68:69]
	s_wait_alu 0xfffd
	v_div_fmas_f64 v[30:31], v[30:31], v[44:45], v[72:73]
	s_delay_alu instid0(VALU_DEP_1) | instskip(SKIP_3) | instid1(VALU_DEP_1)
	v_div_fixup_f64 v[130:131], v[30:31], v[126:127], v[18:19]
	v_add_f64_e32 v[18:19], v[114:115], v[70:71]
	global_store_b64 v[110:111], v[18:19], off
	v_mul_f64_e32 v[18:19], v[104:105], v[150:151]
	v_div_scale_f64 v[30:31], null, v[100:101], v[100:101], v[18:19]
	s_delay_alu instid0(VALU_DEP_1) | instskip(NEXT) | instid1(TRANS32_DEP_1)
	v_rcp_f64_e32 v[44:45], v[30:31]
	v_fma_f64 v[68:69], -v[30:31], v[44:45], 1.0
	s_delay_alu instid0(VALU_DEP_1) | instskip(NEXT) | instid1(VALU_DEP_1)
	v_fma_f64 v[44:45], v[44:45], v[68:69], v[44:45]
	v_fma_f64 v[68:69], -v[30:31], v[44:45], 1.0
	s_delay_alu instid0(VALU_DEP_1) | instskip(SKIP_1) | instid1(VALU_DEP_1)
	v_fma_f64 v[44:45], v[44:45], v[68:69], v[44:45]
	v_div_scale_f64 v[68:69], vcc_lo, v[18:19], v[100:101], v[18:19]
	v_mul_f64_e32 v[70:71], v[68:69], v[44:45]
	s_delay_alu instid0(VALU_DEP_1) | instskip(SKIP_1) | instid1(VALU_DEP_1)
	v_fma_f64 v[30:31], -v[30:31], v[70:71], v[68:69]
	s_wait_alu 0xfffd
	v_div_fmas_f64 v[30:31], v[30:31], v[44:45], v[70:71]
	s_delay_alu instid0(VALU_DEP_1) | instskip(SKIP_1) | instid1(VALU_DEP_1)
	v_div_fixup_f64 v[18:19], v[30:31], v[100:101], v[18:19]
	v_mul_f64_e32 v[30:31], v[66:67], v[92:93]
	v_div_scale_f64 v[44:45], null, v[100:101], v[100:101], v[30:31]
	s_delay_alu instid0(VALU_DEP_1) | instskip(NEXT) | instid1(TRANS32_DEP_1)
	v_rcp_f64_e32 v[66:67], v[44:45]
	v_fma_f64 v[68:69], -v[44:45], v[66:67], 1.0
	s_delay_alu instid0(VALU_DEP_1) | instskip(NEXT) | instid1(VALU_DEP_1)
	v_fma_f64 v[66:67], v[66:67], v[68:69], v[66:67]
	v_fma_f64 v[68:69], -v[44:45], v[66:67], 1.0
	s_delay_alu instid0(VALU_DEP_1) | instskip(SKIP_1) | instid1(VALU_DEP_1)
	v_fma_f64 v[66:67], v[66:67], v[68:69], v[66:67]
	v_div_scale_f64 v[68:69], vcc_lo, v[30:31], v[100:101], v[30:31]
	v_mul_f64_e32 v[70:71], v[68:69], v[66:67]
	s_delay_alu instid0(VALU_DEP_1) | instskip(SKIP_1) | instid1(VALU_DEP_1)
	v_fma_f64 v[44:45], -v[44:45], v[70:71], v[68:69]
	s_wait_alu 0xfffd
	v_div_fmas_f64 v[44:45], v[44:45], v[66:67], v[70:71]
	v_mul_f64_e32 v[66:67], v[100:101], v[184:185]
	s_delay_alu instid0(VALU_DEP_2) | instskip(NEXT) | instid1(VALU_DEP_1)
	v_div_fixup_f64 v[30:31], v[44:45], v[100:101], v[30:31]
	v_add_f64_e64 v[18:19], v[18:19], -v[30:31]
	v_mul_f64_e32 v[30:31], v[14:15], v[130:131]
	s_delay_alu instid0(VALU_DEP_1) | instskip(NEXT) | instid1(VALU_DEP_1)
	v_div_scale_f64 v[44:45], null, v[66:67], v[66:67], v[30:31]
	v_rcp_f64_e32 v[68:69], v[44:45]
	s_delay_alu instid0(TRANS32_DEP_1) | instskip(NEXT) | instid1(VALU_DEP_1)
	v_fma_f64 v[70:71], -v[44:45], v[68:69], 1.0
	v_fma_f64 v[68:69], v[68:69], v[70:71], v[68:69]
	s_delay_alu instid0(VALU_DEP_1) | instskip(NEXT) | instid1(VALU_DEP_1)
	v_fma_f64 v[70:71], -v[44:45], v[68:69], 1.0
	v_fma_f64 v[68:69], v[68:69], v[70:71], v[68:69]
	v_div_scale_f64 v[70:71], vcc_lo, v[30:31], v[66:67], v[30:31]
	s_delay_alu instid0(VALU_DEP_1) | instskip(NEXT) | instid1(VALU_DEP_1)
	v_mul_f64_e32 v[72:73], v[70:71], v[68:69]
	v_fma_f64 v[44:45], -v[44:45], v[72:73], v[70:71]
	s_wait_alu 0xfffd
	s_delay_alu instid0(VALU_DEP_1) | instskip(NEXT) | instid1(VALU_DEP_1)
	v_div_fmas_f64 v[44:45], v[44:45], v[68:69], v[72:73]
	v_div_fixup_f64 v[30:31], v[44:45], v[66:67], v[30:31]
	s_delay_alu instid0(VALU_DEP_1) | instskip(SKIP_2) | instid1(VALU_DEP_3)
	v_add_f64_e64 v[114:115], v[18:19], -v[30:31]
	v_mul_f64_e32 v[18:19], v[58:59], v[180:181]
	v_mul_f64_e32 v[30:31], v[136:137], v[136:137]
	;; [unrolled: 1-line block ×3, first 2 shown]
	s_delay_alu instid0(VALU_DEP_3) | instskip(NEXT) | instid1(VALU_DEP_1)
	v_add_f64_e32 v[18:19], v[18:19], v[18:19]
	v_mul_f64_e32 v[18:19], v[18:19], v[30:31]
	s_delay_alu instid0(VALU_DEP_1) | instskip(NEXT) | instid1(VALU_DEP_1)
	v_mul_f64_e32 v[18:19], v[112:113], v[18:19]
	v_div_scale_f64 v[30:31], null, v[142:143], v[142:143], v[18:19]
	s_delay_alu instid0(VALU_DEP_1) | instskip(NEXT) | instid1(TRANS32_DEP_1)
	v_rcp_f64_e32 v[44:45], v[30:31]
	v_fma_f64 v[68:69], -v[30:31], v[44:45], 1.0
	s_delay_alu instid0(VALU_DEP_1) | instskip(NEXT) | instid1(VALU_DEP_1)
	v_fma_f64 v[44:45], v[44:45], v[68:69], v[44:45]
	v_fma_f64 v[68:69], -v[30:31], v[44:45], 1.0
	s_delay_alu instid0(VALU_DEP_1) | instskip(SKIP_1) | instid1(VALU_DEP_1)
	v_fma_f64 v[44:45], v[44:45], v[68:69], v[44:45]
	v_div_scale_f64 v[68:69], vcc_lo, v[18:19], v[142:143], v[18:19]
	v_mul_f64_e32 v[70:71], v[68:69], v[44:45]
	s_delay_alu instid0(VALU_DEP_1) | instskip(SKIP_1) | instid1(VALU_DEP_1)
	v_fma_f64 v[30:31], -v[30:31], v[70:71], v[68:69]
	s_wait_alu 0xfffd
	v_div_fmas_f64 v[30:31], v[30:31], v[44:45], v[70:71]
	s_delay_alu instid0(VALU_DEP_1) | instskip(SKIP_1) | instid1(VALU_DEP_1)
	v_div_fixup_f64 v[18:19], v[30:31], v[142:143], v[18:19]
	v_add_f64_e32 v[30:31], v[58:59], v[58:59]
	v_mul_f64_e32 v[30:31], v[112:113], v[30:31]
	s_delay_alu instid0(VALU_DEP_1) | instskip(NEXT) | instid1(VALU_DEP_1)
	v_mul_f64_e32 v[30:31], v[30:31], v[136:137]
	v_div_scale_f64 v[44:45], null, v[134:135], v[134:135], v[30:31]
	s_delay_alu instid0(VALU_DEP_1) | instskip(NEXT) | instid1(TRANS32_DEP_1)
	v_rcp_f64_e32 v[68:69], v[44:45]
	v_fma_f64 v[70:71], -v[44:45], v[68:69], 1.0
	s_delay_alu instid0(VALU_DEP_1) | instskip(NEXT) | instid1(VALU_DEP_1)
	v_fma_f64 v[68:69], v[68:69], v[70:71], v[68:69]
	v_fma_f64 v[70:71], -v[44:45], v[68:69], 1.0
	s_delay_alu instid0(VALU_DEP_1) | instskip(SKIP_1) | instid1(VALU_DEP_1)
	v_fma_f64 v[68:69], v[68:69], v[70:71], v[68:69]
	v_div_scale_f64 v[70:71], vcc_lo, v[30:31], v[134:135], v[30:31]
	v_mul_f64_e32 v[72:73], v[70:71], v[68:69]
	s_delay_alu instid0(VALU_DEP_1) | instskip(SKIP_1) | instid1(VALU_DEP_1)
	v_fma_f64 v[44:45], -v[44:45], v[72:73], v[70:71]
	s_wait_alu 0xfffd
	v_div_fmas_f64 v[44:45], v[44:45], v[68:69], v[72:73]
	v_mul_f64_e32 v[68:69], v[148:149], v[148:149]
	s_delay_alu instid0(VALU_DEP_2) | instskip(SKIP_1) | instid1(VALU_DEP_3)
	v_div_fixup_f64 v[30:31], v[44:45], v[134:135], v[30:31]
	v_add_f64_e32 v[44:45], v[106:107], v[106:107]
	v_mul_f64_e32 v[64:65], v[64:65], v[68:69]
	s_delay_alu instid0(VALU_DEP_3) | instskip(NEXT) | instid1(VALU_DEP_3)
	v_add_f64_e64 v[18:19], v[30:31], -v[18:19]
	v_mul_f64_e32 v[44:45], v[44:45], v[108:109]
	s_delay_alu instid0(VALU_DEP_2) | instskip(NEXT) | instid1(VALU_DEP_2)
	v_fma_f64 v[30:31], v[132:133], v[18:19], -v[144:145]
	v_div_scale_f64 v[68:69], null, v[64:65], v[64:65], v[44:45]
	s_delay_alu instid0(VALU_DEP_2) | instskip(NEXT) | instid1(VALU_DEP_2)
	v_fma_f64 v[18:19], v[132:133], v[18:19], v[30:31]
	v_rcp_f64_e32 v[70:71], v[68:69]
	s_delay_alu instid0(VALU_DEP_1) | instskip(NEXT) | instid1(TRANS32_DEP_1)
	v_mul_f64_e32 v[18:19], v[104:105], v[18:19]
	v_fma_f64 v[72:73], -v[68:69], v[70:71], 1.0
	s_delay_alu instid0(VALU_DEP_2) | instskip(NEXT) | instid1(VALU_DEP_2)
	v_div_scale_f64 v[30:31], null, v[100:101], v[100:101], v[18:19]
	v_fma_f64 v[70:71], v[70:71], v[72:73], v[70:71]
	s_delay_alu instid0(VALU_DEP_1) | instskip(NEXT) | instid1(VALU_DEP_1)
	v_fma_f64 v[72:73], -v[68:69], v[70:71], 1.0
	v_fma_f64 v[70:71], v[70:71], v[72:73], v[70:71]
	v_div_scale_f64 v[72:73], vcc_lo, v[44:45], v[64:65], v[44:45]
	s_delay_alu instid0(VALU_DEP_1) | instskip(NEXT) | instid1(VALU_DEP_1)
	v_mul_f64_e32 v[80:81], v[72:73], v[70:71]
	v_fma_f64 v[68:69], -v[68:69], v[80:81], v[72:73]
	s_wait_alu 0xfffd
	s_delay_alu instid0(VALU_DEP_1) | instskip(NEXT) | instid1(VALU_DEP_1)
	v_div_fmas_f64 v[68:69], v[68:69], v[70:71], v[80:81]
	v_div_fixup_f64 v[44:45], v[68:69], v[64:65], v[44:45]
	v_mul_f64_e32 v[64:65], v[54:55], v[118:119]
	s_delay_alu instid0(VALU_DEP_1) | instskip(NEXT) | instid1(VALU_DEP_1)
	v_mul_f64_e32 v[64:65], v[116:117], v[64:65]
	v_mul_f64_e32 v[64:65], v[48:49], v[64:65]
	s_delay_alu instid0(VALU_DEP_1) | instskip(NEXT) | instid1(VALU_DEP_1)
	v_mul_f64_e32 v[64:65], v[64:65], v[120:121]
	;; [unrolled: 3-line block ×3, first 2 shown]
	v_mul_f64_e32 v[64:65], v[52:53], v[64:65]
	s_delay_alu instid0(VALU_DEP_1) | instskip(NEXT) | instid1(VALU_DEP_1)
	v_div_scale_f64 v[68:69], null, v[126:127], v[126:127], v[64:65]
	v_rcp_f64_e32 v[70:71], v[68:69]
	s_delay_alu instid0(TRANS32_DEP_1) | instskip(NEXT) | instid1(VALU_DEP_1)
	v_fma_f64 v[72:73], -v[68:69], v[70:71], 1.0
	v_fma_f64 v[70:71], v[70:71], v[72:73], v[70:71]
	s_delay_alu instid0(VALU_DEP_1) | instskip(NEXT) | instid1(VALU_DEP_1)
	v_fma_f64 v[72:73], -v[68:69], v[70:71], 1.0
	v_fma_f64 v[70:71], v[70:71], v[72:73], v[70:71]
	v_div_scale_f64 v[72:73], vcc_lo, v[64:65], v[126:127], v[64:65]
	s_delay_alu instid0(VALU_DEP_1) | instskip(NEXT) | instid1(VALU_DEP_1)
	v_mul_f64_e32 v[80:81], v[72:73], v[70:71]
	v_fma_f64 v[68:69], -v[68:69], v[80:81], v[72:73]
	s_wait_alu 0xfffd
	s_delay_alu instid0(VALU_DEP_1) | instskip(NEXT) | instid1(VALU_DEP_1)
	v_div_fmas_f64 v[68:69], v[68:69], v[70:71], v[80:81]
	v_div_fixup_f64 v[64:65], v[68:69], v[126:127], v[64:65]
	v_rcp_f64_e32 v[68:69], v[30:31]
	s_delay_alu instid0(TRANS32_DEP_1) | instskip(NEXT) | instid1(VALU_DEP_1)
	v_fma_f64 v[70:71], -v[30:31], v[68:69], 1.0
	v_fma_f64 v[68:69], v[68:69], v[70:71], v[68:69]
	s_delay_alu instid0(VALU_DEP_1) | instskip(NEXT) | instid1(VALU_DEP_1)
	v_fma_f64 v[70:71], -v[30:31], v[68:69], 1.0
	v_fma_f64 v[68:69], v[68:69], v[70:71], v[68:69]
	v_div_scale_f64 v[70:71], vcc_lo, v[18:19], v[100:101], v[18:19]
	s_delay_alu instid0(VALU_DEP_1) | instskip(NEXT) | instid1(VALU_DEP_1)
	v_mul_f64_e32 v[72:73], v[70:71], v[68:69]
	v_fma_f64 v[30:31], -v[30:31], v[72:73], v[70:71]
	s_wait_alu 0xfffd
	s_delay_alu instid0(VALU_DEP_1) | instskip(NEXT) | instid1(VALU_DEP_1)
	v_div_fmas_f64 v[30:31], v[30:31], v[68:69], v[72:73]
	v_div_fixup_f64 v[18:19], v[30:31], v[100:101], v[18:19]
	v_mul_f64_e32 v[30:31], v[102:103], v[92:93]
	s_delay_alu instid0(VALU_DEP_1) | instskip(NEXT) | instid1(VALU_DEP_1)
	v_div_scale_f64 v[68:69], null, v[100:101], v[100:101], v[30:31]
	v_rcp_f64_e32 v[70:71], v[68:69]
	s_delay_alu instid0(TRANS32_DEP_1) | instskip(NEXT) | instid1(VALU_DEP_1)
	v_fma_f64 v[72:73], -v[68:69], v[70:71], 1.0
	v_fma_f64 v[70:71], v[70:71], v[72:73], v[70:71]
	s_delay_alu instid0(VALU_DEP_1) | instskip(NEXT) | instid1(VALU_DEP_1)
	v_fma_f64 v[72:73], -v[68:69], v[70:71], 1.0
	v_fma_f64 v[70:71], v[70:71], v[72:73], v[70:71]
	v_div_scale_f64 v[72:73], vcc_lo, v[30:31], v[100:101], v[30:31]
	s_delay_alu instid0(VALU_DEP_1) | instskip(NEXT) | instid1(VALU_DEP_1)
	v_mul_f64_e32 v[80:81], v[72:73], v[70:71]
	v_fma_f64 v[68:69], -v[68:69], v[80:81], v[72:73]
	s_wait_alu 0xfffd
	s_delay_alu instid0(VALU_DEP_1) | instskip(NEXT) | instid1(VALU_DEP_1)
	v_div_fmas_f64 v[68:69], v[68:69], v[70:71], v[80:81]
	v_div_fixup_f64 v[30:31], v[68:69], v[100:101], v[30:31]
	s_delay_alu instid0(VALU_DEP_1) | instskip(SKIP_1) | instid1(VALU_DEP_1)
	v_add_f64_e64 v[18:19], v[18:19], -v[30:31]
	v_mul_f64_e32 v[30:31], v[14:15], v[64:65]
	v_div_scale_f64 v[64:65], null, v[66:67], v[66:67], v[30:31]
	s_delay_alu instid0(VALU_DEP_1) | instskip(NEXT) | instid1(TRANS32_DEP_1)
	v_rcp_f64_e32 v[68:69], v[64:65]
	v_fma_f64 v[70:71], -v[64:65], v[68:69], 1.0
	s_delay_alu instid0(VALU_DEP_1) | instskip(NEXT) | instid1(VALU_DEP_1)
	v_fma_f64 v[68:69], v[68:69], v[70:71], v[68:69]
	v_fma_f64 v[70:71], -v[64:65], v[68:69], 1.0
	s_delay_alu instid0(VALU_DEP_1) | instskip(SKIP_1) | instid1(VALU_DEP_1)
	v_fma_f64 v[68:69], v[68:69], v[70:71], v[68:69]
	v_div_scale_f64 v[70:71], vcc_lo, v[30:31], v[66:67], v[30:31]
	v_mul_f64_e32 v[72:73], v[70:71], v[68:69]
	s_delay_alu instid0(VALU_DEP_1) | instskip(SKIP_1) | instid1(VALU_DEP_1)
	v_fma_f64 v[64:65], -v[64:65], v[72:73], v[70:71]
	s_wait_alu 0xfffd
	v_div_fmas_f64 v[64:65], v[64:65], v[68:69], v[72:73]
	s_delay_alu instid0(VALU_DEP_1) | instskip(NEXT) | instid1(VALU_DEP_1)
	v_div_fixup_f64 v[30:31], v[64:65], v[66:67], v[30:31]
	v_add_f64_e64 v[18:19], v[18:19], -v[30:31]
	v_mul_f64_e32 v[30:31], v[44:45], v[114:115]
                                        ; implicit-def: $vgpr114_vgpr115
	s_delay_alu instid0(VALU_DEP_1) | instskip(SKIP_1) | instid1(VALU_DEP_1)
	v_fma_f64 v[64:65], v[138:139], v[18:19], v[30:31]
	s_wait_alu 0xfffe
	v_cmp_ngt_f64_e64 s0, |v[64:65]|, s[0:1]
	s_and_saveexec_b32 s1, s0
	s_wait_alu 0xfffe
	s_xor_b32 s0, exec_lo, s1
	s_cbranch_execz .LBB0_71
; %bb.70:
	v_mul_f64_e32 v[114:115], s[12:13], v[110:111]
                                        ; implicit-def: $vgpr64_vgpr65
                                        ; implicit-def: $vgpr110_vgpr111
.LBB0_71:
	s_wait_alu 0xfffe
	s_and_not1_saveexec_b32 s1, s0
	s_cbranch_execz .LBB0_73
; %bb.72:
	v_mul_f64_e32 v[18:19], s[12:13], v[64:65]
	s_mov_b32 s2, 0x652b82fe
	s_mov_b32 s3, 0x3ff71547
	;; [unrolled: 1-line block ×4, first 2 shown]
	s_wait_alu 0xfffe
	s_delay_alu instid0(VALU_DEP_1) | instskip(SKIP_4) | instid1(VALU_DEP_3)
	v_mul_f64_e32 v[30:31], s[2:3], v[18:19]
	s_mov_b32 s2, 0xfefa39ef
	s_mov_b32 s3, 0xbfe62e42
	v_cmp_nlt_f64_e32 vcc_lo, 0x40900000, v[18:19]
	v_cmp_ngt_f64_e64 s0, 0xc090cc00, v[18:19]
	v_rndne_f64_e32 v[30:31], v[30:31]
	s_wait_alu 0xfffe
	s_delay_alu instid0(VALU_DEP_1) | instskip(SKIP_4) | instid1(VALU_DEP_2)
	v_fma_f64 v[44:45], v[30:31], s[2:3], v[18:19]
	s_mov_b32 s2, 0x3b39803f
	s_mov_b32 s3, 0xbc7abc9e
	v_cvt_i32_f64_e32 v68, v[30:31]
	s_wait_alu 0xfffe
	v_fma_f64 v[44:45], v[30:31], s[2:3], v[44:45]
	s_mov_b32 s2, 0xfca7ab0c
	s_mov_b32 s3, 0x3e928af3
	s_wait_alu 0xfffe
	s_delay_alu instid0(VALU_DEP_1) | instskip(SKIP_3) | instid1(VALU_DEP_1)
	v_fma_f64 v[66:67], v[44:45], s[4:5], s[2:3]
	s_mov_b32 s2, 0x623fde64
	s_mov_b32 s3, 0x3ec71dee
	s_wait_alu 0xfffe
	v_fma_f64 v[66:67], v[44:45], v[66:67], s[2:3]
	s_mov_b32 s2, 0x7c89e6b0
	s_mov_b32 s3, 0x3efa0199
	s_wait_alu 0xfffe
	s_delay_alu instid0(VALU_DEP_1) | instskip(SKIP_3) | instid1(VALU_DEP_1)
	v_fma_f64 v[66:67], v[44:45], v[66:67], s[2:3]
	s_mov_b32 s2, 0x14761f6e
	s_mov_b32 s3, 0x3f2a01a0
	;; [unrolled: 9-line block ×4, first 2 shown]
	s_wait_alu 0xfffe
	v_fma_f64 v[66:67], v[44:45], v[66:67], s[2:3]
	s_mov_b32 s2, 11
	s_mov_b32 s3, 0x3fe00000
	s_wait_alu 0xfffe
	s_delay_alu instid0(VALU_DEP_1) | instskip(NEXT) | instid1(VALU_DEP_1)
	v_fma_f64 v[66:67], v[44:45], v[66:67], s[2:3]
	v_fma_f64 v[66:67], v[44:45], v[66:67], 1.0
	s_delay_alu instid0(VALU_DEP_1) | instskip(NEXT) | instid1(VALU_DEP_1)
	v_fma_f64 v[30:31], v[44:45], v[66:67], 1.0
	v_ldexp_f64 v[30:31], v[30:31], v68
	s_delay_alu instid0(VALU_DEP_1) | instskip(SKIP_1) | instid1(VALU_DEP_1)
	v_add_f64_e32 v[30:31], -1.0, v[30:31]
	s_wait_alu 0xfffd
	v_cndmask_b32_e32 v31, 0x7ff00000, v31, vcc_lo
	s_and_b32 vcc_lo, s0, vcc_lo
	s_wait_alu 0xfffe
	s_delay_alu instid0(VALU_DEP_2) | instskip(NEXT) | instid1(VALU_DEP_2)
	v_cndmask_b32_e32 v18, 0, v30, vcc_lo
	v_cndmask_b32_e64 v19, 0xbff00000, v31, s0
	s_delay_alu instid0(VALU_DEP_1) | instskip(NEXT) | instid1(VALU_DEP_1)
	v_mul_f64_e32 v[18:19], v[110:111], v[18:19]
	v_div_scale_f64 v[30:31], null, v[64:65], v[64:65], v[18:19]
	s_delay_alu instid0(VALU_DEP_1) | instskip(NEXT) | instid1(TRANS32_DEP_1)
	v_rcp_f64_e32 v[44:45], v[30:31]
	v_fma_f64 v[66:67], -v[30:31], v[44:45], 1.0
	s_delay_alu instid0(VALU_DEP_1) | instskip(NEXT) | instid1(VALU_DEP_1)
	v_fma_f64 v[44:45], v[44:45], v[66:67], v[44:45]
	v_fma_f64 v[66:67], -v[30:31], v[44:45], 1.0
	s_delay_alu instid0(VALU_DEP_1) | instskip(SKIP_1) | instid1(VALU_DEP_1)
	v_fma_f64 v[44:45], v[44:45], v[66:67], v[44:45]
	v_div_scale_f64 v[66:67], vcc_lo, v[18:19], v[64:65], v[18:19]
	v_mul_f64_e32 v[68:69], v[66:67], v[44:45]
	s_delay_alu instid0(VALU_DEP_1) | instskip(SKIP_1) | instid1(VALU_DEP_1)
	v_fma_f64 v[30:31], -v[30:31], v[68:69], v[66:67]
	s_wait_alu 0xfffd
	v_div_fmas_f64 v[30:31], v[30:31], v[44:45], v[68:69]
	s_delay_alu instid0(VALU_DEP_1)
	v_div_fixup_f64 v[114:115], v[30:31], v[64:65], v[18:19]
.LBB0_73:
	s_wait_alu 0xfffe
	s_or_b32 exec_lo, exec_lo, s1
	scratch_load_b64 v[18:19], off, off offset:96 th:TH_LOAD_LU ; 8-byte Folded Reload
	s_mov_b32 s5, 0xbfe62e42
	s_mov_b32 s4, 0xfefa39ef
	;; [unrolled: 1-line block ×4, first 2 shown]
	v_mul_f64_e64 v[88:89], v[62:63], -v[60:61]
                                        ; implicit-def: $vgpr134_vgpr135
	s_wait_loadcnt 0x0
	v_mul_f64_e32 v[98:99], v[18:19], v[76:77]
	scratch_load_b64 v[18:19], off, off offset:80 th:TH_LOAD_LU ; 8-byte Folded Reload
	v_mul_f64_e32 v[106:107], v[26:27], v[98:99]
	s_wait_loadcnt 0x0
	v_add_f64_e32 v[112:113], v[26:27], v[18:19]
	scratch_load_b64 v[18:19], off, off offset:88 th:TH_LOAD_LU ; 8-byte Folded Reload
	s_wait_loadcnt 0x0
	v_add_f64_e32 v[110:111], v[18:19], v[76:77]
	v_mul_f64_e64 v[18:19], v[2:3], -v[16:17]
	s_delay_alu instid0(VALU_DEP_2) | instskip(NEXT) | instid1(VALU_DEP_2)
	v_mul_f64_e32 v[96:97], v[112:113], v[110:111]
	v_div_scale_f64 v[30:31], null, v[146:147], v[146:147], v[18:19]
	s_delay_alu instid0(VALU_DEP_1) | instskip(NEXT) | instid1(TRANS32_DEP_1)
	v_rcp_f64_e32 v[44:45], v[30:31]
	v_fma_f64 v[64:65], -v[30:31], v[44:45], 1.0
	s_delay_alu instid0(VALU_DEP_1) | instskip(NEXT) | instid1(VALU_DEP_1)
	v_fma_f64 v[44:45], v[44:45], v[64:65], v[44:45]
	v_fma_f64 v[64:65], -v[30:31], v[44:45], 1.0
	s_delay_alu instid0(VALU_DEP_1) | instskip(SKIP_1) | instid1(VALU_DEP_1)
	v_fma_f64 v[44:45], v[44:45], v[64:65], v[44:45]
	v_div_scale_f64 v[64:65], vcc_lo, v[18:19], v[146:147], v[18:19]
	v_mul_f64_e32 v[66:67], v[64:65], v[44:45]
	s_delay_alu instid0(VALU_DEP_1) | instskip(SKIP_1) | instid1(VALU_DEP_1)
	v_fma_f64 v[30:31], -v[30:31], v[66:67], v[64:65]
	s_wait_alu 0xfffd
	v_div_fmas_f64 v[30:31], v[30:31], v[44:45], v[66:67]
	s_delay_alu instid0(VALU_DEP_1) | instskip(NEXT) | instid1(VALU_DEP_1)
	v_div_fixup_f64 v[18:19], v[30:31], v[146:147], v[18:19]
	v_mul_f64_e32 v[30:31], s[6:7], v[18:19]
	v_cmp_nlt_f64_e32 vcc_lo, 0x40900000, v[18:19]
	v_cmp_ngt_f64_e64 s0, 0xc090cc00, v[18:19]
	s_delay_alu instid0(VALU_DEP_3) | instskip(SKIP_1) | instid1(VALU_DEP_1)
	v_rndne_f64_e32 v[30:31], v[30:31]
	s_wait_alu 0xfffe
	v_fma_f64 v[44:45], v[30:31], s[4:5], v[18:19]
	s_delay_alu instid0(VALU_DEP_1) | instskip(SKIP_1) | instid1(VALU_DEP_2)
	v_fma_f64 v[44:45], v[30:31], s[2:3], v[44:45]
	v_cvt_i32_f64_e32 v30, v[30:31]
	v_fma_f64 v[64:65], v[44:45], s[14:15], s[8:9]
	s_delay_alu instid0(VALU_DEP_1) | instskip(NEXT) | instid1(VALU_DEP_1)
	v_fma_f64 v[64:65], v[44:45], v[64:65], s[16:17]
	v_fma_f64 v[64:65], v[44:45], v[64:65], s[18:19]
	s_delay_alu instid0(VALU_DEP_1) | instskip(NEXT) | instid1(VALU_DEP_1)
	v_fma_f64 v[64:65], v[44:45], v[64:65], s[20:21]
	;; [unrolled: 3-line block ×4, first 2 shown]
	v_fma_f64 v[64:65], v[44:45], v[64:65], s[30:31]
	s_delay_alu instid0(VALU_DEP_1) | instskip(NEXT) | instid1(VALU_DEP_1)
	v_fma_f64 v[64:65], v[44:45], v[64:65], 1.0
	v_fma_f64 v[44:45], v[44:45], v[64:65], 1.0
	s_delay_alu instid0(VALU_DEP_1) | instskip(SKIP_1) | instid1(VALU_DEP_1)
	v_ldexp_f64 v[30:31], v[44:45], v30
	s_wait_alu 0xfffd
	v_cndmask_b32_e32 v31, 0x7ff00000, v31, vcc_lo
	s_and_b32 vcc_lo, s0, vcc_lo
	s_wait_alu 0xfffe
	s_delay_alu instid0(VALU_DEP_2) | instskip(NEXT) | instid1(VALU_DEP_2)
	v_cndmask_b32_e32 v100, 0, v30, vcc_lo
	v_cndmask_b32_e64 v101, 0, v31, s0
	s_mov_b32 s0, 0x7318fc50
	s_mov_b32 s1, 0x3fa212d7
	s_wait_alu 0xfffe
	s_delay_alu instid0(VALU_DEP_1) | instskip(SKIP_4) | instid1(VALU_DEP_1)
	v_fma_f64 v[64:65], v[100:101], s[0:1], 1.0
	s_mov_b32 s0, 0x9999999a
	s_mov_b32 s1, 0xbfb99999
	s_wait_alu 0xfffe
	v_mul_f64_e32 v[18:19], s[0:1], v[16:17]
	v_mul_f64_e32 v[18:19], v[2:3], v[18:19]
	s_delay_alu instid0(VALU_DEP_1) | instskip(NEXT) | instid1(VALU_DEP_1)
	v_div_scale_f64 v[30:31], null, v[146:147], v[146:147], v[18:19]
	v_rcp_f64_e32 v[44:45], v[30:31]
	s_delay_alu instid0(TRANS32_DEP_1) | instskip(NEXT) | instid1(VALU_DEP_1)
	v_fma_f64 v[66:67], -v[30:31], v[44:45], 1.0
	v_fma_f64 v[44:45], v[44:45], v[66:67], v[44:45]
	s_delay_alu instid0(VALU_DEP_1) | instskip(NEXT) | instid1(VALU_DEP_1)
	v_fma_f64 v[66:67], -v[30:31], v[44:45], 1.0
	v_fma_f64 v[44:45], v[44:45], v[66:67], v[44:45]
	v_div_scale_f64 v[66:67], vcc_lo, v[18:19], v[146:147], v[18:19]
	s_delay_alu instid0(VALU_DEP_1) | instskip(NEXT) | instid1(VALU_DEP_1)
	v_mul_f64_e32 v[68:69], v[66:67], v[44:45]
	v_fma_f64 v[30:31], -v[30:31], v[68:69], v[66:67]
	s_wait_alu 0xfffd
	s_delay_alu instid0(VALU_DEP_1) | instskip(NEXT) | instid1(VALU_DEP_1)
	v_div_fmas_f64 v[30:31], v[30:31], v[44:45], v[68:69]
	v_div_fixup_f64 v[18:19], v[30:31], v[146:147], v[18:19]
	s_delay_alu instid0(VALU_DEP_1)
	v_mul_f64_e32 v[30:31], s[6:7], v[18:19]
	v_cmp_nlt_f64_e32 vcc_lo, 0x40900000, v[18:19]
	v_cmp_ngt_f64_e64 s0, 0xc090cc00, v[18:19]
	s_mov_b32 s6, 0x6b47b09a
	s_mov_b32 s7, 0x3fc38538
	v_rndne_f64_e32 v[30:31], v[30:31]
	s_delay_alu instid0(VALU_DEP_1) | instskip(SKIP_1) | instid1(VALU_DEP_1)
	v_fma_f64 v[44:45], v[30:31], s[4:5], v[18:19]
	s_mov_b32 s5, 0x3fe62e42
	v_fma_f64 v[44:45], v[30:31], s[2:3], v[44:45]
	v_cvt_i32_f64_e32 v30, v[30:31]
	s_mov_b32 s3, 0x3c7abc9e
	s_delay_alu instid0(VALU_DEP_2) | instskip(SKIP_2) | instid1(VALU_DEP_1)
	v_fma_f64 v[66:67], v[44:45], s[14:15], s[8:9]
	s_mov_b32 s8, 0xbf559e2b
	s_mov_b32 s9, 0x3fc3ab76
	v_fma_f64 v[66:67], v[44:45], v[66:67], s[16:17]
	s_delay_alu instid0(VALU_DEP_1) | instskip(NEXT) | instid1(VALU_DEP_1)
	v_fma_f64 v[66:67], v[44:45], v[66:67], s[18:19]
	v_fma_f64 v[66:67], v[44:45], v[66:67], s[20:21]
	s_delay_alu instid0(VALU_DEP_1) | instskip(NEXT) | instid1(VALU_DEP_1)
	v_fma_f64 v[66:67], v[44:45], v[66:67], s[22:23]
	;; [unrolled: 3-line block ×4, first 2 shown]
	v_fma_f64 v[66:67], v[44:45], v[66:67], 1.0
	s_delay_alu instid0(VALU_DEP_1) | instskip(NEXT) | instid1(VALU_DEP_1)
	v_fma_f64 v[44:45], v[44:45], v[66:67], 1.0
	v_ldexp_f64 v[30:31], v[44:45], v30
	s_wait_alu 0xfffd
	s_delay_alu instid0(VALU_DEP_1) | instskip(SKIP_2) | instid1(VALU_DEP_2)
	v_cndmask_b32_e32 v31, 0x7ff00000, v31, vcc_lo
	s_and_b32 vcc_lo, s0, vcc_lo
	s_wait_alu 0xfffe
	v_cndmask_b32_e32 v102, 0, v30, vcc_lo
	s_delay_alu instid0(VALU_DEP_2) | instskip(SKIP_3) | instid1(VALU_DEP_1)
	v_cndmask_b32_e64 v103, 0, v31, s0
	s_mov_b32 s0, 0x645a1cac
	s_mov_b32 s1, 0x3fbfdf3b
	s_wait_alu 0xfffe
	v_fma_f64 v[104:105], v[102:103], s[0:1], v[64:65]
	s_mov_b32 s1, 0x3fe55555
	s_mov_b32 s0, 0x55555555
	s_delay_alu instid0(VALU_DEP_1) | instskip(NEXT) | instid1(VALU_DEP_1)
	v_mul_f64_e32 v[132:133], v[96:97], v[104:105]
	v_div_scale_f64 v[18:19], null, v[132:133], v[132:133], v[106:107]
	s_delay_alu instid0(VALU_DEP_1) | instskip(NEXT) | instid1(TRANS32_DEP_1)
	v_rcp_f64_e32 v[30:31], v[18:19]
	v_fma_f64 v[44:45], -v[18:19], v[30:31], 1.0
	s_delay_alu instid0(VALU_DEP_1) | instskip(NEXT) | instid1(VALU_DEP_1)
	v_fma_f64 v[30:31], v[30:31], v[44:45], v[30:31]
	v_fma_f64 v[44:45], -v[18:19], v[30:31], 1.0
	s_delay_alu instid0(VALU_DEP_1) | instskip(SKIP_1) | instid1(VALU_DEP_1)
	v_fma_f64 v[30:31], v[30:31], v[44:45], v[30:31]
	v_div_scale_f64 v[44:45], vcc_lo, v[106:107], v[132:133], v[106:107]
	v_mul_f64_e32 v[64:65], v[44:45], v[30:31]
	s_delay_alu instid0(VALU_DEP_1) | instskip(SKIP_1) | instid1(VALU_DEP_1)
	v_fma_f64 v[18:19], -v[18:19], v[64:65], v[44:45]
	s_wait_alu 0xfffd
	v_div_fmas_f64 v[18:19], v[18:19], v[30:31], v[64:65]
	s_delay_alu instid0(VALU_DEP_1) | instskip(SKIP_1) | instid1(VALU_DEP_1)
	v_div_fixup_f64 v[94:95], v[18:19], v[132:133], v[106:107]
	v_div_scale_f64 v[18:19], null, v[26:27], v[26:27], v[82:83]
	v_rcp_f64_e32 v[30:31], v[18:19]
	s_delay_alu instid0(TRANS32_DEP_1) | instskip(NEXT) | instid1(VALU_DEP_1)
	v_fma_f64 v[44:45], -v[18:19], v[30:31], 1.0
	v_fma_f64 v[30:31], v[30:31], v[44:45], v[30:31]
	s_delay_alu instid0(VALU_DEP_1) | instskip(NEXT) | instid1(VALU_DEP_1)
	v_fma_f64 v[44:45], -v[18:19], v[30:31], 1.0
	v_fma_f64 v[30:31], v[30:31], v[44:45], v[30:31]
	v_div_scale_f64 v[44:45], vcc_lo, v[82:83], v[26:27], v[82:83]
	s_delay_alu instid0(VALU_DEP_1) | instskip(NEXT) | instid1(VALU_DEP_1)
	v_mul_f64_e32 v[64:65], v[44:45], v[30:31]
	v_fma_f64 v[18:19], -v[18:19], v[64:65], v[44:45]
	s_wait_alu 0xfffd
	s_delay_alu instid0(VALU_DEP_1) | instskip(NEXT) | instid1(VALU_DEP_1)
	v_div_fmas_f64 v[18:19], v[18:19], v[30:31], v[64:65]
	v_div_fixup_f64 v[64:65], v[18:19], v[26:27], v[82:83]
	s_delay_alu instid0(VALU_DEP_1) | instskip(SKIP_2) | instid1(VALU_DEP_2)
	v_frexp_mant_f64_e32 v[18:19], v[64:65]
	v_frexp_exp_i32_f64_e32 v30, v[64:65]
	s_wait_alu 0xfffe
	v_cmp_gt_f64_e32 vcc_lo, s[0:1], v[18:19]
	s_mov_b32 s0, 0x55555780
	s_wait_alu 0xfffd
	v_cndmask_b32_e64 v31, 0, 1, vcc_lo
	s_delay_alu instid0(VALU_DEP_3) | instskip(SKIP_1) | instid1(VALU_DEP_3)
	v_subrev_co_ci_u32_e64 v80, null, 0, v30, vcc_lo
	v_cmp_class_f64_e64 vcc_lo, v[64:65], 0x204
	v_ldexp_f64 v[18:19], v[18:19], v31
	s_delay_alu instid0(VALU_DEP_1) | instskip(SKIP_1) | instid1(VALU_DEP_2)
	v_add_f64_e32 v[44:45], 1.0, v[18:19]
	v_add_f64_e32 v[30:31], -1.0, v[18:19]
	v_add_f64_e32 v[66:67], -1.0, v[44:45]
	s_delay_alu instid0(VALU_DEP_1) | instskip(SKIP_1) | instid1(TRANS32_DEP_1)
	v_add_f64_e64 v[18:19], v[18:19], -v[66:67]
	v_rcp_f64_e32 v[66:67], v[44:45]
	v_fma_f64 v[68:69], -v[44:45], v[66:67], 1.0
	s_delay_alu instid0(VALU_DEP_1) | instskip(NEXT) | instid1(VALU_DEP_1)
	v_fma_f64 v[66:67], v[68:69], v[66:67], v[66:67]
	v_fma_f64 v[68:69], -v[44:45], v[66:67], 1.0
	s_delay_alu instid0(VALU_DEP_1) | instskip(NEXT) | instid1(VALU_DEP_1)
	v_fma_f64 v[66:67], v[68:69], v[66:67], v[66:67]
	v_mul_f64_e32 v[68:69], v[30:31], v[66:67]
	s_delay_alu instid0(VALU_DEP_1) | instskip(NEXT) | instid1(VALU_DEP_1)
	v_mul_f64_e32 v[70:71], v[44:45], v[68:69]
	v_fma_f64 v[44:45], v[68:69], v[44:45], -v[70:71]
	s_delay_alu instid0(VALU_DEP_1) | instskip(NEXT) | instid1(VALU_DEP_1)
	v_fma_f64 v[18:19], v[68:69], v[18:19], v[44:45]
	v_add_f64_e32 v[44:45], v[70:71], v[18:19]
	s_delay_alu instid0(VALU_DEP_1) | instskip(SKIP_1) | instid1(VALU_DEP_2)
	v_add_f64_e64 v[72:73], v[30:31], -v[44:45]
	v_add_f64_e64 v[70:71], v[44:45], -v[70:71]
	;; [unrolled: 1-line block ×3, first 2 shown]
	s_delay_alu instid0(VALU_DEP_2) | instskip(NEXT) | instid1(VALU_DEP_2)
	v_add_f64_e64 v[18:19], v[70:71], -v[18:19]
	v_add_f64_e64 v[30:31], v[30:31], -v[44:45]
	s_delay_alu instid0(VALU_DEP_1) | instskip(NEXT) | instid1(VALU_DEP_1)
	v_add_f64_e32 v[18:19], v[18:19], v[30:31]
	v_add_f64_e32 v[18:19], v[72:73], v[18:19]
	s_delay_alu instid0(VALU_DEP_1) | instskip(NEXT) | instid1(VALU_DEP_1)
	v_mul_f64_e32 v[18:19], v[66:67], v[18:19]
	v_add_f64_e32 v[30:31], v[68:69], v[18:19]
	s_delay_alu instid0(VALU_DEP_1) | instskip(SKIP_1) | instid1(VALU_DEP_2)
	v_add_f64_e64 v[44:45], v[30:31], -v[68:69]
	v_ldexp_f64 v[68:69], v[30:31], 1
	v_add_f64_e64 v[18:19], v[18:19], -v[44:45]
	v_mul_f64_e32 v[44:45], v[30:31], v[30:31]
	s_delay_alu instid0(VALU_DEP_2) | instskip(NEXT) | instid1(VALU_DEP_2)
	v_ldexp_f64 v[18:19], v[18:19], 1
	v_fma_f64 v[66:67], v[44:45], s[8:9], s[6:7]
	s_mov_b32 s6, 0xd7f4df2e
	s_mov_b32 s7, 0x3fc7474d
	v_mul_f64_e32 v[30:31], v[30:31], v[44:45]
	s_wait_alu 0xfffe
	s_delay_alu instid0(VALU_DEP_2) | instskip(SKIP_3) | instid1(VALU_DEP_1)
	v_fma_f64 v[66:67], v[44:45], v[66:67], s[6:7]
	s_mov_b32 s6, 0x16291751
	s_mov_b32 s7, 0x3fcc71c0
	s_wait_alu 0xfffe
	v_fma_f64 v[66:67], v[44:45], v[66:67], s[6:7]
	s_mov_b32 s6, 0x9b27acf1
	s_mov_b32 s7, 0x3fd24924
	s_wait_alu 0xfffe
	s_delay_alu instid0(VALU_DEP_1) | instskip(SKIP_3) | instid1(VALU_DEP_1)
	v_fma_f64 v[66:67], v[44:45], v[66:67], s[6:7]
	s_mov_b32 s6, 0x998ef7b6
	s_mov_b32 s7, 0x3fd99999
	s_wait_alu 0xfffe
	v_fma_f64 v[66:67], v[44:45], v[66:67], s[6:7]
	s_delay_alu instid0(VALU_DEP_1) | instskip(SKIP_2) | instid1(VALU_DEP_1)
	v_fma_f64 v[66:67], v[44:45], v[66:67], s[0:1]
	s_mov_b32 s0, 0xe2308c3a
	s_mov_b32 s1, 0x3e45798e
	v_mul_f64_e32 v[30:31], v[30:31], v[66:67]
	s_delay_alu instid0(VALU_DEP_1) | instskip(NEXT) | instid1(VALU_DEP_1)
	v_add_f64_e32 v[44:45], v[68:69], v[30:31]
	v_add_f64_e64 v[66:67], v[44:45], -v[68:69]
	s_delay_alu instid0(VALU_DEP_1) | instskip(NEXT) | instid1(VALU_DEP_1)
	v_add_f64_e64 v[30:31], v[30:31], -v[66:67]
	v_add_f64_e32 v[18:19], v[18:19], v[30:31]
	s_delay_alu instid0(VALU_DEP_1) | instskip(NEXT) | instid1(VALU_DEP_1)
	v_add_f64_e32 v[30:31], v[44:45], v[18:19]
	v_add_f64_e64 v[44:45], v[30:31], -v[44:45]
	s_delay_alu instid0(VALU_DEP_1) | instskip(SKIP_1) | instid1(VALU_DEP_1)
	v_add_f64_e64 v[18:19], v[18:19], -v[44:45]
	v_cvt_f64_i32_e32 v[44:45], v80
	v_mul_f64_e32 v[66:67], s[4:5], v[44:45]
	s_delay_alu instid0(VALU_DEP_1) | instskip(NEXT) | instid1(VALU_DEP_1)
	v_fma_f64 v[68:69], v[44:45], s[4:5], -v[66:67]
	v_fma_f64 v[44:45], v[44:45], s[2:3], v[68:69]
	s_delay_alu instid0(VALU_DEP_1) | instskip(NEXT) | instid1(VALU_DEP_1)
	v_add_f64_e32 v[68:69], v[66:67], v[44:45]
	v_add_f64_e64 v[66:67], v[68:69], -v[66:67]
	s_delay_alu instid0(VALU_DEP_1) | instskip(SKIP_1) | instid1(VALU_DEP_1)
	v_add_f64_e64 v[44:45], v[44:45], -v[66:67]
	v_add_f64_e32 v[66:67], v[68:69], v[30:31]
	v_add_f64_e64 v[70:71], v[66:67], -v[68:69]
	s_delay_alu instid0(VALU_DEP_1) | instskip(SKIP_1) | instid1(VALU_DEP_2)
	v_add_f64_e64 v[72:73], v[66:67], -v[70:71]
	v_add_f64_e64 v[30:31], v[30:31], -v[70:71]
	;; [unrolled: 1-line block ×3, first 2 shown]
	s_delay_alu instid0(VALU_DEP_1) | instskip(SKIP_1) | instid1(VALU_DEP_1)
	v_add_f64_e32 v[30:31], v[30:31], v[68:69]
	v_add_f64_e32 v[68:69], v[44:45], v[18:19]
	v_add_f64_e64 v[70:71], v[68:69], -v[44:45]
	s_delay_alu instid0(VALU_DEP_3) | instskip(NEXT) | instid1(VALU_DEP_2)
	v_add_f64_e32 v[30:31], v[68:69], v[30:31]
	v_add_f64_e64 v[72:73], v[68:69], -v[70:71]
	v_add_f64_e64 v[18:19], v[18:19], -v[70:71]
	s_delay_alu instid0(VALU_DEP_2) | instskip(NEXT) | instid1(VALU_DEP_1)
	v_add_f64_e64 v[44:45], v[44:45], -v[72:73]
	v_add_f64_e32 v[18:19], v[18:19], v[44:45]
	v_add_f64_e32 v[44:45], v[66:67], v[30:31]
	s_delay_alu instid0(VALU_DEP_1) | instskip(NEXT) | instid1(VALU_DEP_1)
	v_add_f64_e64 v[66:67], v[44:45], -v[66:67]
	v_add_f64_e64 v[30:31], v[30:31], -v[66:67]
	s_delay_alu instid0(VALU_DEP_1) | instskip(NEXT) | instid1(VALU_DEP_1)
	v_add_f64_e32 v[18:19], v[18:19], v[30:31]
	v_add_f64_e32 v[18:19], v[44:45], v[18:19]
	s_wait_alu 0xfffd
	s_delay_alu instid0(VALU_DEP_1) | instskip(NEXT) | instid1(VALU_DEP_2)
	v_cndmask_b32_e32 v18, v18, v64, vcc_lo
	v_cndmask_b32_e64 v19, -v19, -v65, vcc_lo
	v_cmp_ngt_f64_e32 vcc_lo, 0, v[64:65]
	s_wait_alu 0xfffd
	s_delay_alu instid0(VALU_DEP_2)
	v_cndmask_b32_e32 v19, 0xfff80000, v19, vcc_lo
	v_cmp_nge_f64_e32 vcc_lo, 0, v[64:65]
	s_wait_alu 0xfffd
	v_cndmask_b32_e32 v18, 0, v18, vcc_lo
	v_cmp_neq_f64_e32 vcc_lo, 0, v[64:65]
	s_wait_alu 0xfffd
	v_cndmask_b32_e32 v19, 0x7ff00000, v19, vcc_lo
	s_delay_alu instid0(VALU_DEP_1) | instskip(NEXT) | instid1(VALU_DEP_1)
	v_mul_f64_e32 v[18:19], v[146:147], v[18:19]
	v_div_scale_f64 v[30:31], null, v[16:17], v[16:17], v[18:19]
	s_delay_alu instid0(VALU_DEP_1) | instskip(NEXT) | instid1(TRANS32_DEP_1)
	v_rcp_f64_e32 v[44:45], v[30:31]
	v_fma_f64 v[64:65], -v[30:31], v[44:45], 1.0
	s_delay_alu instid0(VALU_DEP_1) | instskip(NEXT) | instid1(VALU_DEP_1)
	v_fma_f64 v[44:45], v[44:45], v[64:65], v[44:45]
	v_fma_f64 v[64:65], -v[30:31], v[44:45], 1.0
	s_delay_alu instid0(VALU_DEP_1) | instskip(SKIP_1) | instid1(VALU_DEP_1)
	v_fma_f64 v[44:45], v[44:45], v[64:65], v[44:45]
	v_div_scale_f64 v[64:65], vcc_lo, v[18:19], v[16:17], v[18:19]
	v_mul_f64_e32 v[66:67], v[64:65], v[44:45]
	s_delay_alu instid0(VALU_DEP_1) | instskip(SKIP_1) | instid1(VALU_DEP_1)
	v_fma_f64 v[30:31], -v[30:31], v[66:67], v[64:65]
	s_wait_alu 0xfffd
	v_div_fmas_f64 v[30:31], v[30:31], v[44:45], v[66:67]
	s_delay_alu instid0(VALU_DEP_1) | instskip(SKIP_3) | instid1(VALU_DEP_1)
	v_div_fixup_f64 v[18:19], v[30:31], v[16:17], v[18:19]
	scratch_load_b64 v[30:31], off, off offset:72 th:TH_LOAD_LU ; 8-byte Folded Reload
	v_add_f64_e32 v[66:67], v[2:3], v[18:19]
	v_mul_f64_e32 v[18:19], v[86:87], v[86:87]
	v_mul_f64_e32 v[18:19], v[86:87], v[18:19]
	;; [unrolled: 1-line block ×3, first 2 shown]
	s_wait_loadcnt 0x0
	s_delay_alu instid0(VALU_DEP_2) | instskip(NEXT) | instid1(VALU_DEP_1)
	v_mul_f64_e32 v[18:19], v[18:19], v[30:31]
	v_mul_f64_e32 v[30:31], v[18:19], v[66:67]
	s_delay_alu instid0(VALU_DEP_1) | instskip(SKIP_1) | instid1(VALU_DEP_2)
	v_mul_f64_e32 v[30:31], v[84:85], v[30:31]
	v_mul_f64_e32 v[84:85], v[84:85], v[18:19]
	;; [unrolled: 1-line block ×3, first 2 shown]
	v_add_f64_e32 v[30:31], v[58:59], v[114:115]
	s_delay_alu instid0(VALU_DEP_3) | instskip(SKIP_2) | instid1(VALU_DEP_1)
	v_mul_f64_e32 v[18:19], v[20:21], v[84:85]
	global_store_b64 v[90:91], v[30:31], off
	v_fma_f64 v[30:31], -v[22:23], v[66:67], -v[108:109]
	v_fma_f64 v[30:31], 0xc0080000, v[178:179], v[30:31]
	s_delay_alu instid0(VALU_DEP_1) | instskip(NEXT) | instid1(VALU_DEP_1)
	v_fma_f64 v[30:31], 0xc0080000, v[94:95], v[30:31]
	v_mul_f64_e32 v[30:31], v[14:15], v[30:31]
	s_delay_alu instid0(VALU_DEP_1) | instskip(NEXT) | instid1(VALU_DEP_1)
	v_div_scale_f64 v[44:45], null, v[86:87], v[86:87], v[30:31]
	v_rcp_f64_e32 v[64:65], v[44:45]
	s_delay_alu instid0(TRANS32_DEP_1) | instskip(NEXT) | instid1(VALU_DEP_1)
	v_fma_f64 v[68:69], -v[44:45], v[64:65], 1.0
	v_fma_f64 v[64:65], v[64:65], v[68:69], v[64:65]
	s_delay_alu instid0(VALU_DEP_1) | instskip(NEXT) | instid1(VALU_DEP_1)
	v_fma_f64 v[68:69], -v[44:45], v[64:65], 1.0
	v_fma_f64 v[64:65], v[64:65], v[68:69], v[64:65]
	v_div_scale_f64 v[68:69], vcc_lo, v[30:31], v[86:87], v[30:31]
	s_delay_alu instid0(VALU_DEP_1) | instskip(NEXT) | instid1(VALU_DEP_1)
	v_mul_f64_e32 v[70:71], v[68:69], v[64:65]
	v_fma_f64 v[44:45], -v[44:45], v[70:71], v[68:69]
	s_wait_alu 0xfffd
	s_delay_alu instid0(VALU_DEP_1) | instskip(NEXT) | instid1(VALU_DEP_1)
	v_div_fmas_f64 v[44:45], v[44:45], v[64:65], v[70:71]
	v_div_fixup_f64 v[64:65], v[44:45], v[86:87], v[30:31]
	v_mul_f64_e32 v[30:31], v[26:27], v[16:17]
	s_delay_alu instid0(VALU_DEP_1) | instskip(NEXT) | instid1(VALU_DEP_1)
	v_div_scale_f64 v[44:45], null, v[30:31], v[30:31], v[88:89]
	v_rcp_f64_e32 v[68:69], v[44:45]
	s_delay_alu instid0(TRANS32_DEP_1) | instskip(NEXT) | instid1(VALU_DEP_1)
	v_fma_f64 v[70:71], -v[44:45], v[68:69], 1.0
	v_fma_f64 v[68:69], v[68:69], v[70:71], v[68:69]
	s_delay_alu instid0(VALU_DEP_1) | instskip(NEXT) | instid1(VALU_DEP_1)
	v_fma_f64 v[70:71], -v[44:45], v[68:69], 1.0
	v_fma_f64 v[68:69], v[68:69], v[70:71], v[68:69]
	v_div_scale_f64 v[70:71], vcc_lo, v[88:89], v[30:31], v[88:89]
	s_delay_alu instid0(VALU_DEP_1) | instskip(NEXT) | instid1(VALU_DEP_1)
	v_mul_f64_e32 v[72:73], v[70:71], v[68:69]
	v_fma_f64 v[44:45], -v[44:45], v[72:73], v[70:71]
	s_wait_alu 0xfffd
	s_delay_alu instid0(VALU_DEP_1) | instskip(NEXT) | instid1(VALU_DEP_1)
	v_div_fmas_f64 v[44:45], v[44:45], v[68:69], v[72:73]
	v_div_fixup_f64 v[30:31], v[44:45], v[30:31], v[88:89]
	v_mul_f64_e32 v[44:45], 0x40080000, v[38:39]
	s_delay_alu instid0(VALU_DEP_1) | instskip(NEXT) | instid1(VALU_DEP_1)
	v_mul_f64_e32 v[44:45], v[28:29], v[44:45]
	v_mul_f64_e32 v[44:45], v[182:183], v[44:45]
	s_delay_alu instid0(VALU_DEP_1) | instskip(NEXT) | instid1(VALU_DEP_1)
	v_mul_f64_e32 v[44:45], v[44:45], v[164:165]
	v_div_scale_f64 v[68:69], null, v[174:175], v[174:175], v[44:45]
	s_delay_alu instid0(VALU_DEP_1) | instskip(NEXT) | instid1(TRANS32_DEP_1)
	v_rcp_f64_e32 v[70:71], v[68:69]
	v_fma_f64 v[72:73], -v[68:69], v[70:71], 1.0
	s_delay_alu instid0(VALU_DEP_1) | instskip(NEXT) | instid1(VALU_DEP_1)
	v_fma_f64 v[70:71], v[70:71], v[72:73], v[70:71]
	v_fma_f64 v[72:73], -v[68:69], v[70:71], 1.0
	s_delay_alu instid0(VALU_DEP_1) | instskip(SKIP_1) | instid1(VALU_DEP_1)
	v_fma_f64 v[70:71], v[70:71], v[72:73], v[70:71]
	v_div_scale_f64 v[72:73], vcc_lo, v[44:45], v[174:175], v[44:45]
	v_mul_f64_e32 v[80:81], v[72:73], v[70:71]
	s_delay_alu instid0(VALU_DEP_1) | instskip(SKIP_1) | instid1(VALU_DEP_1)
	v_fma_f64 v[68:69], -v[68:69], v[80:81], v[72:73]
	s_wait_alu 0xfffd
	v_div_fmas_f64 v[68:69], v[68:69], v[70:71], v[80:81]
	s_delay_alu instid0(VALU_DEP_1) | instskip(SKIP_1) | instid1(VALU_DEP_1)
	v_div_fixup_f64 v[44:45], v[68:69], v[174:175], v[44:45]
	v_div_scale_f64 v[68:69], null, v[132:133], v[132:133], v[98:99]
	v_rcp_f64_e32 v[70:71], v[68:69]
	s_delay_alu instid0(TRANS32_DEP_1) | instskip(NEXT) | instid1(VALU_DEP_1)
	v_fma_f64 v[72:73], -v[68:69], v[70:71], 1.0
	v_fma_f64 v[70:71], v[70:71], v[72:73], v[70:71]
	s_delay_alu instid0(VALU_DEP_1) | instskip(NEXT) | instid1(VALU_DEP_1)
	v_fma_f64 v[72:73], -v[68:69], v[70:71], 1.0
	v_fma_f64 v[70:71], v[70:71], v[72:73], v[70:71]
	v_div_scale_f64 v[72:73], vcc_lo, v[98:99], v[132:133], v[98:99]
	s_delay_alu instid0(VALU_DEP_1) | instskip(NEXT) | instid1(VALU_DEP_1)
	v_mul_f64_e32 v[80:81], v[72:73], v[70:71]
	v_fma_f64 v[68:69], -v[68:69], v[80:81], v[72:73]
	s_wait_alu 0xfffd
	s_delay_alu instid0(VALU_DEP_1) | instskip(SKIP_1) | instid1(VALU_DEP_2)
	v_div_fmas_f64 v[68:69], v[68:69], v[70:71], v[80:81]
	v_mul_f64_e32 v[70:71], v[112:113], v[112:113]
	v_div_fixup_f64 v[68:69], v[68:69], v[132:133], v[98:99]
	s_delay_alu instid0(VALU_DEP_2) | instskip(NEXT) | instid1(VALU_DEP_1)
	v_mul_f64_e32 v[70:71], v[70:71], v[110:111]
	v_mul_f64_e32 v[70:71], v[70:71], v[104:105]
	s_delay_alu instid0(VALU_DEP_1) | instskip(NEXT) | instid1(VALU_DEP_1)
	v_div_scale_f64 v[72:73], null, v[70:71], v[70:71], v[106:107]
	v_rcp_f64_e32 v[80:81], v[72:73]
	s_delay_alu instid0(TRANS32_DEP_1) | instskip(NEXT) | instid1(VALU_DEP_1)
	v_fma_f64 v[90:91], -v[72:73], v[80:81], 1.0
	v_fma_f64 v[80:81], v[80:81], v[90:91], v[80:81]
	s_delay_alu instid0(VALU_DEP_1) | instskip(NEXT) | instid1(VALU_DEP_1)
	v_fma_f64 v[90:91], -v[72:73], v[80:81], 1.0
	v_fma_f64 v[80:81], v[80:81], v[90:91], v[80:81]
	v_div_scale_f64 v[90:91], vcc_lo, v[106:107], v[70:71], v[106:107]
	s_delay_alu instid0(VALU_DEP_1) | instskip(NEXT) | instid1(VALU_DEP_1)
	v_mul_f64_e32 v[92:93], v[90:91], v[80:81]
	v_fma_f64 v[72:73], -v[72:73], v[92:93], v[90:91]
	s_wait_alu 0xfffd
	s_delay_alu instid0(VALU_DEP_1) | instskip(NEXT) | instid1(VALU_DEP_1)
	v_div_fmas_f64 v[72:73], v[72:73], v[80:81], v[92:93]
	v_div_fixup_f64 v[70:71], v[72:73], v[70:71], v[106:107]
	s_delay_alu instid0(VALU_DEP_1) | instskip(NEXT) | instid1(VALU_DEP_1)
	v_add_f64_e64 v[68:69], v[68:69], -v[70:71]
	v_mul_f64_e32 v[68:69], 0xc0080000, v[68:69]
	s_delay_alu instid0(VALU_DEP_1) | instskip(NEXT) | instid1(VALU_DEP_1)
	v_fma_f64 v[44:45], 0xc0080000, v[44:45], v[68:69]
	v_fma_f64 v[44:45], v[22:23], v[30:31], v[44:45]
	s_delay_alu instid0(VALU_DEP_1) | instskip(NEXT) | instid1(VALU_DEP_1)
	v_fma_f64 v[18:19], v[18:19], v[30:31], v[44:45]
	v_mul_f64_e32 v[18:19], v[14:15], v[18:19]
	s_delay_alu instid0(VALU_DEP_1) | instskip(NEXT) | instid1(VALU_DEP_1)
	v_div_scale_f64 v[30:31], null, v[86:87], v[86:87], v[18:19]
	v_rcp_f64_e32 v[44:45], v[30:31]
	s_delay_alu instid0(TRANS32_DEP_1) | instskip(NEXT) | instid1(VALU_DEP_1)
	v_fma_f64 v[68:69], -v[30:31], v[44:45], 1.0
	v_fma_f64 v[44:45], v[44:45], v[68:69], v[44:45]
	s_delay_alu instid0(VALU_DEP_1) | instskip(NEXT) | instid1(VALU_DEP_1)
	v_fma_f64 v[68:69], -v[30:31], v[44:45], 1.0
	v_fma_f64 v[44:45], v[44:45], v[68:69], v[44:45]
	v_div_scale_f64 v[68:69], vcc_lo, v[18:19], v[86:87], v[18:19]
	s_delay_alu instid0(VALU_DEP_1) | instskip(NEXT) | instid1(VALU_DEP_1)
	v_mul_f64_e32 v[70:71], v[68:69], v[44:45]
	v_fma_f64 v[30:31], -v[30:31], v[70:71], v[68:69]
	s_wait_alu 0xfffd
	s_delay_alu instid0(VALU_DEP_1) | instskip(NEXT) | instid1(VALU_DEP_1)
	v_div_fmas_f64 v[30:31], v[30:31], v[44:45], v[70:71]
	v_div_fixup_f64 v[70:71], v[30:31], v[86:87], v[18:19]
	s_wait_alu 0xfffe
	s_delay_alu instid0(VALU_DEP_1)
	v_cmp_ngt_f64_e64 s0, |v[70:71]|, s[0:1]
	s_and_saveexec_b32 s1, s0
	s_wait_alu 0xfffe
	s_xor_b32 s0, exec_lo, s1
	s_cbranch_execz .LBB0_75
; %bb.74:
	v_mul_f64_e32 v[134:135], s[12:13], v[64:65]
                                        ; implicit-def: $vgpr70_vgpr71
                                        ; implicit-def: $vgpr64_vgpr65
.LBB0_75:
	s_wait_alu 0xfffe
	s_or_saveexec_b32 s1, s0
	v_mul_f64_e32 v[112:113], v[22:23], v[66:67]
	s_wait_alu 0xfffe
	s_xor_b32 exec_lo, exec_lo, s1
	s_cbranch_execz .LBB0_77
; %bb.76:
	v_mul_f64_e32 v[18:19], s[12:13], v[70:71]
	s_mov_b32 s2, 0x652b82fe
	s_mov_b32 s3, 0x3ff71547
	;; [unrolled: 1-line block ×4, first 2 shown]
	s_wait_alu 0xfffe
	s_delay_alu instid0(VALU_DEP_1) | instskip(SKIP_4) | instid1(VALU_DEP_3)
	v_mul_f64_e32 v[30:31], s[2:3], v[18:19]
	s_mov_b32 s2, 0xfefa39ef
	s_mov_b32 s3, 0xbfe62e42
	v_cmp_nlt_f64_e32 vcc_lo, 0x40900000, v[18:19]
	v_cmp_ngt_f64_e64 s0, 0xc090cc00, v[18:19]
	v_rndne_f64_e32 v[30:31], v[30:31]
	s_wait_alu 0xfffe
	s_delay_alu instid0(VALU_DEP_1) | instskip(SKIP_4) | instid1(VALU_DEP_2)
	v_fma_f64 v[44:45], v[30:31], s[2:3], v[18:19]
	s_mov_b32 s2, 0x3b39803f
	s_mov_b32 s3, 0xbc7abc9e
	v_cvt_i32_f64_e32 v68, v[30:31]
	s_wait_alu 0xfffe
	v_fma_f64 v[44:45], v[30:31], s[2:3], v[44:45]
	s_mov_b32 s2, 0xfca7ab0c
	s_mov_b32 s3, 0x3e928af3
	s_wait_alu 0xfffe
	s_delay_alu instid0(VALU_DEP_1) | instskip(SKIP_3) | instid1(VALU_DEP_1)
	v_fma_f64 v[66:67], v[44:45], s[4:5], s[2:3]
	s_mov_b32 s2, 0x623fde64
	s_mov_b32 s3, 0x3ec71dee
	s_wait_alu 0xfffe
	v_fma_f64 v[66:67], v[44:45], v[66:67], s[2:3]
	s_mov_b32 s2, 0x7c89e6b0
	s_mov_b32 s3, 0x3efa0199
	s_wait_alu 0xfffe
	s_delay_alu instid0(VALU_DEP_1) | instskip(SKIP_3) | instid1(VALU_DEP_1)
	v_fma_f64 v[66:67], v[44:45], v[66:67], s[2:3]
	s_mov_b32 s2, 0x14761f6e
	s_mov_b32 s3, 0x3f2a01a0
	s_wait_alu 0xfffe
	v_fma_f64 v[66:67], v[44:45], v[66:67], s[2:3]
	s_mov_b32 s2, 0x1852b7b0
	s_mov_b32 s3, 0x3f56c16c
	s_wait_alu 0xfffe
	s_delay_alu instid0(VALU_DEP_1) | instskip(SKIP_3) | instid1(VALU_DEP_1)
	v_fma_f64 v[66:67], v[44:45], v[66:67], s[2:3]
	s_mov_b32 s2, 0x11122322
	s_mov_b32 s3, 0x3f811111
	s_wait_alu 0xfffe
	v_fma_f64 v[66:67], v[44:45], v[66:67], s[2:3]
	s_mov_b32 s2, 0x555502a1
	s_mov_b32 s3, 0x3fa55555
	s_wait_alu 0xfffe
	s_delay_alu instid0(VALU_DEP_1) | instskip(SKIP_3) | instid1(VALU_DEP_1)
	v_fma_f64 v[66:67], v[44:45], v[66:67], s[2:3]
	s_mov_b32 s2, 0x55555511
	s_mov_b32 s3, 0x3fc55555
	s_wait_alu 0xfffe
	v_fma_f64 v[66:67], v[44:45], v[66:67], s[2:3]
	s_mov_b32 s2, 11
	s_mov_b32 s3, 0x3fe00000
	s_wait_alu 0xfffe
	s_delay_alu instid0(VALU_DEP_1) | instskip(NEXT) | instid1(VALU_DEP_1)
	v_fma_f64 v[66:67], v[44:45], v[66:67], s[2:3]
	v_fma_f64 v[66:67], v[44:45], v[66:67], 1.0
	s_delay_alu instid0(VALU_DEP_1) | instskip(NEXT) | instid1(VALU_DEP_1)
	v_fma_f64 v[30:31], v[44:45], v[66:67], 1.0
	v_ldexp_f64 v[30:31], v[30:31], v68
	s_delay_alu instid0(VALU_DEP_1) | instskip(SKIP_1) | instid1(VALU_DEP_1)
	v_add_f64_e32 v[30:31], -1.0, v[30:31]
	s_wait_alu 0xfffd
	v_cndmask_b32_e32 v31, 0x7ff00000, v31, vcc_lo
	s_and_b32 vcc_lo, s0, vcc_lo
	s_wait_alu 0xfffe
	s_delay_alu instid0(VALU_DEP_2) | instskip(NEXT) | instid1(VALU_DEP_2)
	v_cndmask_b32_e32 v18, 0, v30, vcc_lo
	v_cndmask_b32_e64 v19, 0xbff00000, v31, s0
	s_delay_alu instid0(VALU_DEP_1) | instskip(NEXT) | instid1(VALU_DEP_1)
	v_mul_f64_e32 v[18:19], v[18:19], v[64:65]
	v_div_scale_f64 v[30:31], null, v[70:71], v[70:71], v[18:19]
	s_delay_alu instid0(VALU_DEP_1) | instskip(NEXT) | instid1(TRANS32_DEP_1)
	v_rcp_f64_e32 v[44:45], v[30:31]
	v_fma_f64 v[64:65], -v[30:31], v[44:45], 1.0
	s_delay_alu instid0(VALU_DEP_1) | instskip(NEXT) | instid1(VALU_DEP_1)
	v_fma_f64 v[44:45], v[44:45], v[64:65], v[44:45]
	v_fma_f64 v[64:65], -v[30:31], v[44:45], 1.0
	s_delay_alu instid0(VALU_DEP_1) | instskip(SKIP_1) | instid1(VALU_DEP_1)
	v_fma_f64 v[44:45], v[44:45], v[64:65], v[44:45]
	v_div_scale_f64 v[64:65], vcc_lo, v[18:19], v[70:71], v[18:19]
	v_mul_f64_e32 v[66:67], v[64:65], v[44:45]
	s_delay_alu instid0(VALU_DEP_1) | instskip(SKIP_1) | instid1(VALU_DEP_1)
	v_fma_f64 v[30:31], -v[30:31], v[66:67], v[64:65]
	s_wait_alu 0xfffd
	v_div_fmas_f64 v[30:31], v[30:31], v[44:45], v[66:67]
	s_delay_alu instid0(VALU_DEP_1)
	v_div_fixup_f64 v[134:135], v[30:31], v[70:71], v[18:19]
.LBB0_77:
	s_or_b32 exec_lo, exec_lo, s1
	v_div_scale_f64 v[18:19], null, v[6:7], v[6:7], v[76:77]
	s_mov_b32 s36, 0x55555555
	s_mov_b32 s37, 0x3fe55555
	;; [unrolled: 1-line block ×15, first 2 shown]
	s_wait_alu 0xfffe
	s_mov_b32 s51, s37
	s_mov_b32 s34, 0xfefa39ef
	;; [unrolled: 1-line block ×10, first 2 shown]
	s_wait_alu 0xfffe
	s_mov_b32 s4, s34
	s_mov_b32 s7, 0xbc7abc9e
	s_mov_b32 s6, s52
	s_mov_b32 s8, 0xfca7ab0c
	s_mov_b32 s9, 0x3e928af3
	scratch_load_b64 v[188:189], off, off offset:16 th:TH_LOAD_LU ; 8-byte Folded Reload
	v_mul_f64_e32 v[114:115], v[78:79], v[78:79]
	v_mul_f64_e32 v[60:61], v[60:61], v[60:61]
	;; [unrolled: 1-line block ×3, first 2 shown]
	v_rcp_f64_e32 v[30:31], v[18:19]
	s_delay_alu instid0(VALU_DEP_1) | instskip(SKIP_1) | instid1(TRANS32_DEP_1)
	v_mul_f64_e32 v[60:61], v[60:61], v[62:63]
	v_mul_f64_e32 v[62:63], v[122:123], v[122:123]
	v_fma_f64 v[44:45], -v[18:19], v[30:31], 1.0
	s_delay_alu instid0(VALU_DEP_2) | instskip(NEXT) | instid1(VALU_DEP_2)
	v_mul_f64_e32 v[62:63], v[60:61], v[62:63]
	v_fma_f64 v[30:31], v[30:31], v[44:45], v[30:31]
	s_delay_alu instid0(VALU_DEP_1) | instskip(NEXT) | instid1(VALU_DEP_1)
	v_fma_f64 v[44:45], -v[18:19], v[30:31], 1.0
	v_fma_f64 v[30:31], v[30:31], v[44:45], v[30:31]
	v_div_scale_f64 v[44:45], vcc_lo, v[76:77], v[6:7], v[76:77]
	s_delay_alu instid0(VALU_DEP_1) | instskip(NEXT) | instid1(VALU_DEP_1)
	v_mul_f64_e32 v[64:65], v[44:45], v[30:31]
	v_fma_f64 v[18:19], -v[18:19], v[64:65], v[44:45]
	s_wait_alu 0xfffd
	s_delay_alu instid0(VALU_DEP_1) | instskip(NEXT) | instid1(VALU_DEP_1)
	v_div_fmas_f64 v[18:19], v[18:19], v[30:31], v[64:65]
	v_div_fixup_f64 v[64:65], v[18:19], v[6:7], v[76:77]
	s_delay_alu instid0(VALU_DEP_1) | instskip(SKIP_1) | instid1(VALU_DEP_2)
	v_frexp_mant_f64_e32 v[18:19], v[64:65]
	v_frexp_exp_i32_f64_e32 v30, v[64:65]
	v_cmp_gt_f64_e32 vcc_lo, s[36:37], v[18:19]
	s_wait_alu 0xfffd
	v_cndmask_b32_e64 v31, 0, 1, vcc_lo
	s_delay_alu instid0(VALU_DEP_3) | instskip(SKIP_1) | instid1(VALU_DEP_3)
	v_subrev_co_ci_u32_e64 v80, null, 0, v30, vcc_lo
	v_cmp_class_f64_e64 vcc_lo, v[64:65], 0x204
	v_ldexp_f64 v[18:19], v[18:19], v31
	s_delay_alu instid0(VALU_DEP_1) | instskip(SKIP_1) | instid1(VALU_DEP_2)
	v_add_f64_e32 v[44:45], 1.0, v[18:19]
	v_add_f64_e32 v[30:31], -1.0, v[18:19]
	v_add_f64_e32 v[66:67], -1.0, v[44:45]
	s_delay_alu instid0(VALU_DEP_1) | instskip(SKIP_1) | instid1(TRANS32_DEP_1)
	v_add_f64_e64 v[18:19], v[18:19], -v[66:67]
	v_rcp_f64_e32 v[66:67], v[44:45]
	v_fma_f64 v[68:69], -v[44:45], v[66:67], 1.0
	s_delay_alu instid0(VALU_DEP_1) | instskip(NEXT) | instid1(VALU_DEP_1)
	v_fma_f64 v[66:67], v[68:69], v[66:67], v[66:67]
	v_fma_f64 v[68:69], -v[44:45], v[66:67], 1.0
	s_delay_alu instid0(VALU_DEP_1) | instskip(NEXT) | instid1(VALU_DEP_1)
	v_fma_f64 v[66:67], v[68:69], v[66:67], v[66:67]
	v_mul_f64_e32 v[68:69], v[30:31], v[66:67]
	s_delay_alu instid0(VALU_DEP_1) | instskip(NEXT) | instid1(VALU_DEP_1)
	v_mul_f64_e32 v[70:71], v[44:45], v[68:69]
	v_fma_f64 v[44:45], v[68:69], v[44:45], -v[70:71]
	s_delay_alu instid0(VALU_DEP_1) | instskip(NEXT) | instid1(VALU_DEP_1)
	v_fma_f64 v[18:19], v[68:69], v[18:19], v[44:45]
	v_add_f64_e32 v[44:45], v[70:71], v[18:19]
	s_delay_alu instid0(VALU_DEP_1) | instskip(SKIP_1) | instid1(VALU_DEP_2)
	v_add_f64_e64 v[72:73], v[30:31], -v[44:45]
	v_add_f64_e64 v[70:71], v[44:45], -v[70:71]
	;; [unrolled: 1-line block ×3, first 2 shown]
	s_delay_alu instid0(VALU_DEP_2) | instskip(NEXT) | instid1(VALU_DEP_2)
	v_add_f64_e64 v[18:19], v[70:71], -v[18:19]
	v_add_f64_e64 v[30:31], v[30:31], -v[44:45]
	s_delay_alu instid0(VALU_DEP_1) | instskip(NEXT) | instid1(VALU_DEP_1)
	v_add_f64_e32 v[18:19], v[18:19], v[30:31]
	v_add_f64_e32 v[18:19], v[72:73], v[18:19]
	s_delay_alu instid0(VALU_DEP_1) | instskip(NEXT) | instid1(VALU_DEP_1)
	v_mul_f64_e32 v[18:19], v[66:67], v[18:19]
	v_add_f64_e32 v[30:31], v[68:69], v[18:19]
	s_delay_alu instid0(VALU_DEP_1) | instskip(SKIP_1) | instid1(VALU_DEP_2)
	v_add_f64_e64 v[44:45], v[30:31], -v[68:69]
	v_ldexp_f64 v[68:69], v[30:31], 1
	v_add_f64_e64 v[18:19], v[18:19], -v[44:45]
	v_mul_f64_e32 v[44:45], v[30:31], v[30:31]
	s_delay_alu instid0(VALU_DEP_2) | instskip(NEXT) | instid1(VALU_DEP_2)
	v_ldexp_f64 v[18:19], v[18:19], 1
	v_fma_f64 v[66:67], v[44:45], s[40:41], s[38:39]
	v_mul_f64_e32 v[30:31], v[30:31], v[44:45]
	s_delay_alu instid0(VALU_DEP_2) | instskip(NEXT) | instid1(VALU_DEP_1)
	v_fma_f64 v[66:67], v[44:45], v[66:67], s[42:43]
	v_fma_f64 v[66:67], v[44:45], v[66:67], s[44:45]
	s_delay_alu instid0(VALU_DEP_1) | instskip(NEXT) | instid1(VALU_DEP_1)
	v_fma_f64 v[66:67], v[44:45], v[66:67], s[46:47]
	v_fma_f64 v[66:67], v[44:45], v[66:67], s[48:49]
	s_delay_alu instid0(VALU_DEP_1) | instskip(NEXT) | instid1(VALU_DEP_1)
	v_fma_f64 v[66:67], v[44:45], v[66:67], s[50:51]
	v_mul_f64_e32 v[30:31], v[30:31], v[66:67]
	s_delay_alu instid0(VALU_DEP_1) | instskip(NEXT) | instid1(VALU_DEP_1)
	v_add_f64_e32 v[44:45], v[68:69], v[30:31]
	v_add_f64_e64 v[66:67], v[44:45], -v[68:69]
	s_delay_alu instid0(VALU_DEP_1) | instskip(NEXT) | instid1(VALU_DEP_1)
	v_add_f64_e64 v[30:31], v[30:31], -v[66:67]
	v_add_f64_e32 v[18:19], v[18:19], v[30:31]
	s_delay_alu instid0(VALU_DEP_1) | instskip(NEXT) | instid1(VALU_DEP_1)
	v_add_f64_e32 v[30:31], v[44:45], v[18:19]
	v_add_f64_e64 v[44:45], v[30:31], -v[44:45]
	s_delay_alu instid0(VALU_DEP_1) | instskip(SKIP_1) | instid1(VALU_DEP_1)
	v_add_f64_e64 v[18:19], v[18:19], -v[44:45]
	v_cvt_f64_i32_e32 v[44:45], v80
	v_mul_f64_e32 v[66:67], s[34:35], v[44:45]
	s_delay_alu instid0(VALU_DEP_1) | instskip(NEXT) | instid1(VALU_DEP_1)
	v_fma_f64 v[68:69], v[44:45], s[34:35], -v[66:67]
	v_fma_f64 v[44:45], v[44:45], s[52:53], v[68:69]
	s_delay_alu instid0(VALU_DEP_1) | instskip(NEXT) | instid1(VALU_DEP_1)
	v_add_f64_e32 v[68:69], v[66:67], v[44:45]
	v_add_f64_e64 v[66:67], v[68:69], -v[66:67]
	s_delay_alu instid0(VALU_DEP_1) | instskip(SKIP_1) | instid1(VALU_DEP_1)
	v_add_f64_e64 v[44:45], v[44:45], -v[66:67]
	v_add_f64_e32 v[66:67], v[68:69], v[30:31]
	v_add_f64_e64 v[70:71], v[66:67], -v[68:69]
	s_delay_alu instid0(VALU_DEP_1) | instskip(SKIP_1) | instid1(VALU_DEP_2)
	v_add_f64_e64 v[72:73], v[66:67], -v[70:71]
	v_add_f64_e64 v[30:31], v[30:31], -v[70:71]
	;; [unrolled: 1-line block ×3, first 2 shown]
	s_delay_alu instid0(VALU_DEP_1) | instskip(SKIP_1) | instid1(VALU_DEP_1)
	v_add_f64_e32 v[30:31], v[30:31], v[68:69]
	v_add_f64_e32 v[68:69], v[44:45], v[18:19]
	v_add_f64_e64 v[70:71], v[68:69], -v[44:45]
	s_delay_alu instid0(VALU_DEP_3) | instskip(NEXT) | instid1(VALU_DEP_2)
	v_add_f64_e32 v[30:31], v[68:69], v[30:31]
	v_add_f64_e64 v[72:73], v[68:69], -v[70:71]
	v_add_f64_e64 v[18:19], v[18:19], -v[70:71]
	s_delay_alu instid0(VALU_DEP_2) | instskip(NEXT) | instid1(VALU_DEP_1)
	v_add_f64_e64 v[44:45], v[44:45], -v[72:73]
	v_add_f64_e32 v[18:19], v[18:19], v[44:45]
	v_add_f64_e32 v[44:45], v[66:67], v[30:31]
	s_delay_alu instid0(VALU_DEP_1) | instskip(NEXT) | instid1(VALU_DEP_1)
	v_add_f64_e64 v[66:67], v[44:45], -v[66:67]
	v_add_f64_e64 v[30:31], v[30:31], -v[66:67]
	s_delay_alu instid0(VALU_DEP_1) | instskip(NEXT) | instid1(VALU_DEP_1)
	v_add_f64_e32 v[18:19], v[18:19], v[30:31]
	v_add_f64_e32 v[18:19], v[44:45], v[18:19]
	s_wait_alu 0xfffd
	s_delay_alu instid0(VALU_DEP_1) | instskip(SKIP_2) | instid1(VALU_DEP_2)
	v_dual_cndmask_b32 v18, v18, v64 :: v_dual_cndmask_b32 v19, v19, v65
	v_cmp_ngt_f64_e32 vcc_lo, 0, v[64:65]
	s_wait_alu 0xfffd
	v_cndmask_b32_e32 v19, 0x7ff80000, v19, vcc_lo
	v_cmp_nge_f64_e32 vcc_lo, 0, v[64:65]
	s_wait_alu 0xfffd
	v_cndmask_b32_e32 v18, 0, v18, vcc_lo
	v_cmp_neq_f64_e32 vcc_lo, 0, v[64:65]
	s_wait_alu 0xfffd
	v_cndmask_b32_e32 v19, 0xfff00000, v19, vcc_lo
	s_delay_alu instid0(VALU_DEP_1) | instskip(NEXT) | instid1(VALU_DEP_1)
	v_mul_f64_e32 v[18:19], v[146:147], v[18:19]
	v_div_scale_f64 v[30:31], null, v[16:17], v[16:17], v[18:19]
	s_delay_alu instid0(VALU_DEP_1) | instskip(NEXT) | instid1(TRANS32_DEP_1)
	v_rcp_f64_e32 v[44:45], v[30:31]
	v_fma_f64 v[64:65], -v[30:31], v[44:45], 1.0
	s_delay_alu instid0(VALU_DEP_1) | instskip(NEXT) | instid1(VALU_DEP_1)
	v_fma_f64 v[44:45], v[44:45], v[64:65], v[44:45]
	v_fma_f64 v[64:65], -v[30:31], v[44:45], 1.0
	s_delay_alu instid0(VALU_DEP_1) | instskip(SKIP_1) | instid1(VALU_DEP_1)
	v_fma_f64 v[44:45], v[44:45], v[64:65], v[44:45]
	v_div_scale_f64 v[64:65], vcc_lo, v[18:19], v[16:17], v[18:19]
	v_mul_f64_e32 v[66:67], v[64:65], v[44:45]
	s_delay_alu instid0(VALU_DEP_1) | instskip(SKIP_1) | instid1(VALU_DEP_1)
	v_fma_f64 v[30:31], -v[30:31], v[66:67], v[64:65]
	s_wait_alu 0xfffd
	v_div_fmas_f64 v[30:31], v[30:31], v[44:45], v[66:67]
	s_delay_alu instid0(VALU_DEP_1) | instskip(SKIP_1) | instid1(VALU_DEP_2)
	v_div_fixup_f64 v[138:139], v[30:31], v[16:17], v[18:19]
	v_mul_f64_e32 v[30:31], s[0:1], v[2:3]
	v_add_f64_e64 v[132:133], v[2:3], -v[138:139]
	s_delay_alu instid0(VALU_DEP_2) | instskip(SKIP_2) | instid1(VALU_DEP_4)
	v_mul_f64_e32 v[44:45], s[2:3], v[30:31]
	v_cmp_nlt_f64_e32 vcc_lo, 0x40900000, v[30:31]
	v_cmp_ngt_f64_e64 s0, 0xc090cc00, v[30:31]
	v_mul_f64_e32 v[18:19], v[10:11], v[132:133]
	s_delay_alu instid0(VALU_DEP_4) | instskip(SKIP_1) | instid1(VALU_DEP_1)
	v_rndne_f64_e32 v[44:45], v[44:45]
	s_wait_alu 0xfffe
	v_fma_f64 v[64:65], v[44:45], s[4:5], v[30:31]
	s_delay_alu instid0(VALU_DEP_1) | instskip(SKIP_1) | instid1(VALU_DEP_2)
	v_fma_f64 v[64:65], v[44:45], s[6:7], v[64:65]
	v_cvt_i32_f64_e32 v44, v[44:45]
	v_fma_f64 v[66:67], v[64:65], s[14:15], s[8:9]
	s_delay_alu instid0(VALU_DEP_1) | instskip(NEXT) | instid1(VALU_DEP_1)
	v_fma_f64 v[66:67], v[64:65], v[66:67], s[16:17]
	v_fma_f64 v[66:67], v[64:65], v[66:67], s[18:19]
	s_delay_alu instid0(VALU_DEP_1) | instskip(NEXT) | instid1(VALU_DEP_1)
	v_fma_f64 v[66:67], v[64:65], v[66:67], s[20:21]
	;; [unrolled: 3-line block ×4, first 2 shown]
	v_fma_f64 v[66:67], v[64:65], v[66:67], s[30:31]
	s_delay_alu instid0(VALU_DEP_1) | instskip(NEXT) | instid1(VALU_DEP_1)
	v_fma_f64 v[66:67], v[64:65], v[66:67], 1.0
	v_fma_f64 v[64:65], v[64:65], v[66:67], 1.0
	s_delay_alu instid0(VALU_DEP_1) | instskip(SKIP_1) | instid1(VALU_DEP_1)
	v_ldexp_f64 v[44:45], v[64:65], v44
	s_wait_alu 0xfffd
	v_cndmask_b32_e32 v45, 0x7ff00000, v45, vcc_lo
	s_and_b32 vcc_lo, s0, vcc_lo
	s_wait_alu 0xfffe
	s_delay_alu instid0(VALU_DEP_2) | instskip(NEXT) | instid1(VALU_DEP_2)
	v_cndmask_b32_e32 v136, 0, v44, vcc_lo
	v_cndmask_b32_e64 v137, 0, v45, s0
	s_mov_b32 s0, 0xe01dcc3
	s_mov_b32 s1, 0x405059ef
	s_wait_alu 0xfffe
	s_delay_alu instid0(VALU_DEP_1) | instskip(SKIP_2) | instid1(VALU_DEP_1)
	v_fma_f64 v[90:91], v[136:137], s[0:1], 1.0
	s_mov_b32 s0, 0xeb851eb8
	s_mov_b32 s1, 0x3faeb851
	v_div_scale_f64 v[30:31], null, v[90:91], v[90:91], v[18:19]
	s_delay_alu instid0(VALU_DEP_1) | instskip(NEXT) | instid1(TRANS32_DEP_1)
	v_rcp_f64_e32 v[44:45], v[30:31]
	v_fma_f64 v[64:65], -v[30:31], v[44:45], 1.0
	s_delay_alu instid0(VALU_DEP_1) | instskip(NEXT) | instid1(VALU_DEP_1)
	v_fma_f64 v[44:45], v[44:45], v[64:65], v[44:45]
	v_fma_f64 v[64:65], -v[30:31], v[44:45], 1.0
	s_delay_alu instid0(VALU_DEP_1) | instskip(SKIP_1) | instid1(VALU_DEP_1)
	v_fma_f64 v[44:45], v[44:45], v[64:65], v[44:45]
	v_div_scale_f64 v[64:65], vcc_lo, v[18:19], v[90:91], v[18:19]
	v_mul_f64_e32 v[66:67], v[64:65], v[44:45]
	s_delay_alu instid0(VALU_DEP_1) | instskip(SKIP_1) | instid1(VALU_DEP_1)
	v_fma_f64 v[30:31], -v[30:31], v[66:67], v[64:65]
	s_wait_alu 0xfffd
	v_div_fmas_f64 v[30:31], v[30:31], v[44:45], v[66:67]
	s_delay_alu instid0(VALU_DEP_1)
	v_div_fixup_f64 v[92:93], v[30:31], v[90:91], v[18:19]
	s_clause 0x1
	scratch_load_b64 v[30:31], off, off offset:64 th:TH_LOAD_LU
	scratch_load_b64 v[186:187], off, off offset:8 th:TH_LOAD_LU
	s_wait_loadcnt 0x2
	v_mul_f64_e32 v[18:19], v[188:189], v[132:133]
	s_delay_alu instid0(VALU_DEP_1)
	v_mul_f64_e32 v[106:107], v[42:43], v[18:19]
	v_mul_f64_e32 v[42:43], v[42:43], v[188:189]
	s_wait_loadcnt 0x1
	v_fma_f64 v[18:19], v[30:31], v[82:83], v[76:77]
	v_fma_f64 v[80:81], v[26:27], v[30:31], v[6:7]
	s_wait_loadcnt 0x0
	v_mul_f64_e32 v[78:79], v[114:115], v[186:187]
	s_delay_alu instid0(VALU_DEP_2) | instskip(NEXT) | instid1(VALU_DEP_1)
	v_div_scale_f64 v[30:31], null, v[80:81], v[80:81], v[18:19]
	v_rcp_f64_e32 v[44:45], v[30:31]
	s_delay_alu instid0(TRANS32_DEP_1) | instskip(NEXT) | instid1(VALU_DEP_1)
	v_fma_f64 v[64:65], -v[30:31], v[44:45], 1.0
	v_fma_f64 v[44:45], v[44:45], v[64:65], v[44:45]
	s_delay_alu instid0(VALU_DEP_1) | instskip(NEXT) | instid1(VALU_DEP_1)
	v_fma_f64 v[64:65], -v[30:31], v[44:45], 1.0
	v_fma_f64 v[44:45], v[44:45], v[64:65], v[44:45]
	v_div_scale_f64 v[64:65], vcc_lo, v[18:19], v[80:81], v[18:19]
	s_delay_alu instid0(VALU_DEP_1) | instskip(NEXT) | instid1(VALU_DEP_1)
	v_mul_f64_e32 v[66:67], v[64:65], v[44:45]
	v_fma_f64 v[30:31], -v[30:31], v[66:67], v[64:65]
	s_wait_alu 0xfffd
	s_delay_alu instid0(VALU_DEP_1) | instskip(NEXT) | instid1(VALU_DEP_1)
	v_div_fmas_f64 v[30:31], v[30:31], v[44:45], v[66:67]
	v_div_fixup_f64 v[18:19], v[30:31], v[80:81], v[18:19]
	s_delay_alu instid0(VALU_DEP_1) | instskip(SKIP_1) | instid1(VALU_DEP_2)
	v_frexp_mant_f64_e32 v[30:31], v[18:19]
	v_frexp_exp_i32_f64_e32 v44, v[18:19]
	v_cmp_gt_f64_e32 vcc_lo, s[36:37], v[30:31]
	s_wait_alu 0xfffd
	v_cndmask_b32_e64 v45, 0, 1, vcc_lo
	s_delay_alu instid0(VALU_DEP_3) | instskip(SKIP_1) | instid1(VALU_DEP_3)
	v_subrev_co_ci_u32_e64 v82, null, 0, v44, vcc_lo
	v_cmp_class_f64_e64 vcc_lo, v[18:19], 0x204
	v_ldexp_f64 v[30:31], v[30:31], v45
	s_delay_alu instid0(VALU_DEP_1) | instskip(SKIP_1) | instid1(VALU_DEP_2)
	v_add_f64_e32 v[64:65], 1.0, v[30:31]
	v_add_f64_e32 v[44:45], -1.0, v[30:31]
	v_add_f64_e32 v[66:67], -1.0, v[64:65]
	s_delay_alu instid0(VALU_DEP_1) | instskip(SKIP_1) | instid1(TRANS32_DEP_1)
	v_add_f64_e64 v[30:31], v[30:31], -v[66:67]
	v_rcp_f64_e32 v[66:67], v[64:65]
	v_fma_f64 v[68:69], -v[64:65], v[66:67], 1.0
	s_delay_alu instid0(VALU_DEP_1) | instskip(NEXT) | instid1(VALU_DEP_1)
	v_fma_f64 v[66:67], v[68:69], v[66:67], v[66:67]
	v_fma_f64 v[68:69], -v[64:65], v[66:67], 1.0
	s_delay_alu instid0(VALU_DEP_1) | instskip(NEXT) | instid1(VALU_DEP_1)
	v_fma_f64 v[66:67], v[68:69], v[66:67], v[66:67]
	v_mul_f64_e32 v[68:69], v[44:45], v[66:67]
	s_delay_alu instid0(VALU_DEP_1) | instskip(NEXT) | instid1(VALU_DEP_1)
	v_mul_f64_e32 v[70:71], v[64:65], v[68:69]
	v_fma_f64 v[64:65], v[68:69], v[64:65], -v[70:71]
	s_delay_alu instid0(VALU_DEP_1) | instskip(NEXT) | instid1(VALU_DEP_1)
	v_fma_f64 v[30:31], v[68:69], v[30:31], v[64:65]
	v_add_f64_e32 v[64:65], v[70:71], v[30:31]
	s_delay_alu instid0(VALU_DEP_1) | instskip(SKIP_1) | instid1(VALU_DEP_2)
	v_add_f64_e64 v[72:73], v[44:45], -v[64:65]
	v_add_f64_e64 v[70:71], v[64:65], -v[70:71]
	v_add_f64_e64 v[44:45], v[44:45], -v[72:73]
	s_delay_alu instid0(VALU_DEP_2) | instskip(NEXT) | instid1(VALU_DEP_2)
	v_add_f64_e64 v[30:31], v[70:71], -v[30:31]
	v_add_f64_e64 v[44:45], v[44:45], -v[64:65]
	s_delay_alu instid0(VALU_DEP_1) | instskip(NEXT) | instid1(VALU_DEP_1)
	v_add_f64_e32 v[30:31], v[30:31], v[44:45]
	v_add_f64_e32 v[30:31], v[72:73], v[30:31]
	s_delay_alu instid0(VALU_DEP_1) | instskip(NEXT) | instid1(VALU_DEP_1)
	v_mul_f64_e32 v[30:31], v[66:67], v[30:31]
	v_add_f64_e32 v[44:45], v[68:69], v[30:31]
	s_delay_alu instid0(VALU_DEP_1) | instskip(SKIP_1) | instid1(VALU_DEP_2)
	v_add_f64_e64 v[64:65], v[44:45], -v[68:69]
	v_ldexp_f64 v[68:69], v[44:45], 1
	v_add_f64_e64 v[30:31], v[30:31], -v[64:65]
	v_mul_f64_e32 v[64:65], v[44:45], v[44:45]
	s_delay_alu instid0(VALU_DEP_2) | instskip(NEXT) | instid1(VALU_DEP_2)
	v_ldexp_f64 v[30:31], v[30:31], 1
	v_fma_f64 v[66:67], v[64:65], s[40:41], s[38:39]
	v_mul_f64_e32 v[44:45], v[44:45], v[64:65]
	s_delay_alu instid0(VALU_DEP_2) | instskip(NEXT) | instid1(VALU_DEP_1)
	v_fma_f64 v[66:67], v[64:65], v[66:67], s[42:43]
	v_fma_f64 v[66:67], v[64:65], v[66:67], s[44:45]
	s_delay_alu instid0(VALU_DEP_1) | instskip(NEXT) | instid1(VALU_DEP_1)
	v_fma_f64 v[66:67], v[64:65], v[66:67], s[46:47]
	v_fma_f64 v[66:67], v[64:65], v[66:67], s[48:49]
	s_delay_alu instid0(VALU_DEP_1) | instskip(NEXT) | instid1(VALU_DEP_1)
	v_fma_f64 v[66:67], v[64:65], v[66:67], s[50:51]
	v_mul_f64_e32 v[44:45], v[44:45], v[66:67]
	s_delay_alu instid0(VALU_DEP_1) | instskip(NEXT) | instid1(VALU_DEP_1)
	v_add_f64_e32 v[64:65], v[68:69], v[44:45]
	v_add_f64_e64 v[66:67], v[64:65], -v[68:69]
	s_delay_alu instid0(VALU_DEP_1) | instskip(NEXT) | instid1(VALU_DEP_1)
	v_add_f64_e64 v[44:45], v[44:45], -v[66:67]
	v_add_f64_e32 v[30:31], v[30:31], v[44:45]
	s_delay_alu instid0(VALU_DEP_1) | instskip(NEXT) | instid1(VALU_DEP_1)
	v_add_f64_e32 v[44:45], v[64:65], v[30:31]
	v_add_f64_e64 v[64:65], v[44:45], -v[64:65]
	s_delay_alu instid0(VALU_DEP_1) | instskip(SKIP_1) | instid1(VALU_DEP_1)
	v_add_f64_e64 v[30:31], v[30:31], -v[64:65]
	v_cvt_f64_i32_e32 v[64:65], v82
	v_mul_f64_e32 v[66:67], s[34:35], v[64:65]
	s_delay_alu instid0(VALU_DEP_1) | instskip(NEXT) | instid1(VALU_DEP_1)
	v_fma_f64 v[68:69], v[64:65], s[34:35], -v[66:67]
	v_fma_f64 v[64:65], v[64:65], s[52:53], v[68:69]
	s_delay_alu instid0(VALU_DEP_1) | instskip(NEXT) | instid1(VALU_DEP_1)
	v_add_f64_e32 v[68:69], v[66:67], v[64:65]
	v_add_f64_e64 v[66:67], v[68:69], -v[66:67]
	s_delay_alu instid0(VALU_DEP_1) | instskip(SKIP_1) | instid1(VALU_DEP_1)
	v_add_f64_e64 v[64:65], v[64:65], -v[66:67]
	v_add_f64_e32 v[66:67], v[68:69], v[44:45]
	v_add_f64_e64 v[70:71], v[66:67], -v[68:69]
	s_delay_alu instid0(VALU_DEP_1) | instskip(SKIP_1) | instid1(VALU_DEP_2)
	v_add_f64_e64 v[72:73], v[66:67], -v[70:71]
	v_add_f64_e64 v[44:45], v[44:45], -v[70:71]
	;; [unrolled: 1-line block ×3, first 2 shown]
	s_delay_alu instid0(VALU_DEP_1) | instskip(SKIP_1) | instid1(VALU_DEP_1)
	v_add_f64_e32 v[44:45], v[44:45], v[68:69]
	v_add_f64_e32 v[68:69], v[64:65], v[30:31]
	v_add_f64_e64 v[70:71], v[68:69], -v[64:65]
	s_delay_alu instid0(VALU_DEP_3) | instskip(NEXT) | instid1(VALU_DEP_2)
	v_add_f64_e32 v[44:45], v[68:69], v[44:45]
	v_add_f64_e64 v[72:73], v[68:69], -v[70:71]
	v_add_f64_e64 v[30:31], v[30:31], -v[70:71]
	s_delay_alu instid0(VALU_DEP_2) | instskip(NEXT) | instid1(VALU_DEP_1)
	v_add_f64_e64 v[64:65], v[64:65], -v[72:73]
	v_add_f64_e32 v[30:31], v[30:31], v[64:65]
	v_add_f64_e32 v[64:65], v[66:67], v[44:45]
	s_delay_alu instid0(VALU_DEP_1) | instskip(NEXT) | instid1(VALU_DEP_1)
	v_add_f64_e64 v[66:67], v[64:65], -v[66:67]
	v_add_f64_e64 v[44:45], v[44:45], -v[66:67]
	s_delay_alu instid0(VALU_DEP_1) | instskip(NEXT) | instid1(VALU_DEP_1)
	v_add_f64_e32 v[30:31], v[30:31], v[44:45]
	v_add_f64_e32 v[30:31], v[64:65], v[30:31]
	s_wait_alu 0xfffd
	s_delay_alu instid0(VALU_DEP_1) | instskip(SKIP_2) | instid1(VALU_DEP_2)
	v_dual_cndmask_b32 v30, v30, v18 :: v_dual_cndmask_b32 v31, v31, v19
	v_cmp_ngt_f64_e32 vcc_lo, 0, v[18:19]
	s_wait_alu 0xfffd
	v_cndmask_b32_e32 v31, 0x7ff80000, v31, vcc_lo
	v_cmp_nge_f64_e32 vcc_lo, 0, v[18:19]
	s_wait_alu 0xfffd
	v_cndmask_b32_e32 v30, 0, v30, vcc_lo
	v_cmp_neq_f64_e32 vcc_lo, 0, v[18:19]
	s_wait_alu 0xfffd
	v_cndmask_b32_e32 v31, 0xfff00000, v31, vcc_lo
	s_delay_alu instid0(VALU_DEP_1) | instskip(NEXT) | instid1(VALU_DEP_1)
	v_mul_f64_e32 v[18:19], v[146:147], v[30:31]
	v_div_scale_f64 v[30:31], null, v[16:17], v[16:17], v[18:19]
	s_delay_alu instid0(VALU_DEP_1) | instskip(NEXT) | instid1(TRANS32_DEP_1)
	v_rcp_f64_e32 v[44:45], v[30:31]
	v_fma_f64 v[64:65], -v[30:31], v[44:45], 1.0
	s_delay_alu instid0(VALU_DEP_1) | instskip(NEXT) | instid1(VALU_DEP_1)
	v_fma_f64 v[44:45], v[44:45], v[64:65], v[44:45]
	v_fma_f64 v[64:65], -v[30:31], v[44:45], 1.0
	s_delay_alu instid0(VALU_DEP_1) | instskip(SKIP_1) | instid1(VALU_DEP_1)
	v_fma_f64 v[44:45], v[44:45], v[64:65], v[44:45]
	v_div_scale_f64 v[64:65], vcc_lo, v[18:19], v[16:17], v[18:19]
	v_mul_f64_e32 v[66:67], v[64:65], v[44:45]
	s_delay_alu instid0(VALU_DEP_1) | instskip(SKIP_1) | instid1(VALU_DEP_1)
	v_fma_f64 v[30:31], -v[30:31], v[66:67], v[64:65]
	s_wait_alu 0xfffd
	v_div_fmas_f64 v[30:31], v[30:31], v[44:45], v[66:67]
	s_delay_alu instid0(VALU_DEP_1) | instskip(NEXT) | instid1(VALU_DEP_1)
	v_div_fixup_f64 v[18:19], v[30:31], v[16:17], v[18:19]
	v_add_f64_e64 v[110:111], v[2:3], -v[18:19]
	s_wait_alu 0xfffe
	v_mul_f64_e32 v[18:19], s[0:1], v[138:139]
	s_delay_alu instid0(VALU_DEP_1) | instskip(NEXT) | instid1(VALU_DEP_1)
	v_fma_f64 v[18:19], v[2:3], s[0:1], -v[18:19]
	v_mul_f64_e32 v[30:31], s[2:3], v[18:19]
	v_cmp_nlt_f64_e32 vcc_lo, 0x40900000, v[18:19]
	v_cmp_ngt_f64_e64 s0, 0xc090cc00, v[18:19]
	s_delay_alu instid0(VALU_DEP_3) | instskip(NEXT) | instid1(VALU_DEP_1)
	v_rndne_f64_e32 v[30:31], v[30:31]
	v_fma_f64 v[44:45], v[30:31], s[4:5], v[18:19]
	s_delay_alu instid0(VALU_DEP_1) | instskip(SKIP_1) | instid1(VALU_DEP_2)
	v_fma_f64 v[44:45], v[30:31], s[6:7], v[44:45]
	v_cvt_i32_f64_e32 v30, v[30:31]
	v_fma_f64 v[64:65], v[44:45], s[14:15], s[8:9]
	s_delay_alu instid0(VALU_DEP_1) | instskip(NEXT) | instid1(VALU_DEP_1)
	v_fma_f64 v[64:65], v[44:45], v[64:65], s[16:17]
	v_fma_f64 v[64:65], v[44:45], v[64:65], s[18:19]
	s_delay_alu instid0(VALU_DEP_1) | instskip(NEXT) | instid1(VALU_DEP_1)
	v_fma_f64 v[64:65], v[44:45], v[64:65], s[20:21]
	v_fma_f64 v[64:65], v[44:45], v[64:65], s[22:23]
	s_delay_alu instid0(VALU_DEP_1) | instskip(NEXT) | instid1(VALU_DEP_1)
	v_fma_f64 v[64:65], v[44:45], v[64:65], s[24:25]
	v_fma_f64 v[64:65], v[44:45], v[64:65], s[26:27]
	s_delay_alu instid0(VALU_DEP_1) | instskip(NEXT) | instid1(VALU_DEP_1)
	v_fma_f64 v[64:65], v[44:45], v[64:65], s[28:29]
	v_fma_f64 v[64:65], v[44:45], v[64:65], s[30:31]
	s_delay_alu instid0(VALU_DEP_1) | instskip(NEXT) | instid1(VALU_DEP_1)
	v_fma_f64 v[64:65], v[44:45], v[64:65], 1.0
	v_fma_f64 v[44:45], v[44:45], v[64:65], 1.0
	s_delay_alu instid0(VALU_DEP_1) | instskip(SKIP_1) | instid1(VALU_DEP_1)
	v_ldexp_f64 v[30:31], v[44:45], v30
	s_wait_alu 0xfffd
	v_cndmask_b32_e32 v31, 0x7ff00000, v31, vcc_lo
	s_and_b32 vcc_lo, s0, vcc_lo
	s_wait_alu 0xfffe
	s_delay_alu instid0(VALU_DEP_2) | instskip(NEXT) | instid1(VALU_DEP_2)
	v_cndmask_b32_e32 v150, 0, v30, vcc_lo
	v_cndmask_b32_e64 v151, 0, v31, s0
	s_mov_b32 s0, 0x3b43bc8b
	s_mov_b32 s1, 0x3ed9c54c
	s_wait_alu 0xfffe
	s_delay_alu instid0(VALU_DEP_1) | instskip(SKIP_3) | instid1(VALU_DEP_1)
	v_fma_f64 v[180:181], v[150:151], s[0:1], 1.0
	s_mov_b32 s0, 0x9999999a
	s_mov_b32 s1, 0x3fb99999
	s_wait_alu 0xfffe
	v_div_scale_f64 v[18:19], null, v[180:181], v[180:181], s[0:1]
	s_delay_alu instid0(VALU_DEP_1) | instskip(NEXT) | instid1(TRANS32_DEP_1)
	v_rcp_f64_e32 v[30:31], v[18:19]
	v_fma_f64 v[44:45], -v[18:19], v[30:31], 1.0
	s_delay_alu instid0(VALU_DEP_1) | instskip(NEXT) | instid1(VALU_DEP_1)
	v_fma_f64 v[30:31], v[30:31], v[44:45], v[30:31]
	v_fma_f64 v[44:45], -v[18:19], v[30:31], 1.0
	s_delay_alu instid0(VALU_DEP_1) | instskip(SKIP_1) | instid1(VALU_DEP_1)
	v_fma_f64 v[30:31], v[30:31], v[44:45], v[30:31]
	v_div_scale_f64 v[44:45], vcc_lo, s[0:1], v[180:181], s[0:1]
	v_mul_f64_e32 v[64:65], v[44:45], v[30:31]
	s_delay_alu instid0(VALU_DEP_1) | instskip(SKIP_1) | instid1(VALU_DEP_1)
	v_fma_f64 v[18:19], -v[18:19], v[64:65], v[44:45]
	s_wait_alu 0xfffd
	v_div_fmas_f64 v[18:19], v[18:19], v[30:31], v[64:65]
	s_delay_alu instid0(VALU_DEP_1) | instskip(SKIP_1) | instid1(VALU_DEP_1)
	v_div_fixup_f64 v[140:141], v[18:19], v[180:181], s[0:1]
	v_mul_f64_e32 v[18:19], s[0:1], v[138:139]
	v_fma_f64 v[18:19], v[2:3], s[0:1], -v[18:19]
	s_delay_alu instid0(VALU_DEP_1) | instskip(SKIP_2) | instid1(VALU_DEP_3)
	v_mul_f64_e32 v[30:31], s[2:3], v[18:19]
	v_cmp_nlt_f64_e32 vcc_lo, 0x40900000, v[18:19]
	v_cmp_ngt_f64_e64 s0, 0xc090cc00, v[18:19]
	v_rndne_f64_e32 v[30:31], v[30:31]
	s_delay_alu instid0(VALU_DEP_1) | instskip(NEXT) | instid1(VALU_DEP_1)
	v_fma_f64 v[44:45], v[30:31], s[4:5], v[18:19]
	v_fma_f64 v[44:45], v[30:31], s[6:7], v[44:45]
	v_cvt_i32_f64_e32 v30, v[30:31]
	s_delay_alu instid0(VALU_DEP_2) | instskip(NEXT) | instid1(VALU_DEP_1)
	v_fma_f64 v[64:65], v[44:45], s[14:15], s[8:9]
	v_fma_f64 v[64:65], v[44:45], v[64:65], s[16:17]
	s_delay_alu instid0(VALU_DEP_1) | instskip(NEXT) | instid1(VALU_DEP_1)
	v_fma_f64 v[64:65], v[44:45], v[64:65], s[18:19]
	v_fma_f64 v[64:65], v[44:45], v[64:65], s[20:21]
	s_delay_alu instid0(VALU_DEP_1) | instskip(NEXT) | instid1(VALU_DEP_1)
	;; [unrolled: 3-line block ×4, first 2 shown]
	v_fma_f64 v[64:65], v[44:45], v[64:65], s[30:31]
	v_fma_f64 v[64:65], v[44:45], v[64:65], 1.0
	s_delay_alu instid0(VALU_DEP_1) | instskip(NEXT) | instid1(VALU_DEP_1)
	v_fma_f64 v[44:45], v[44:45], v[64:65], 1.0
	v_ldexp_f64 v[30:31], v[44:45], v30
	s_wait_alu 0xfffd
	s_delay_alu instid0(VALU_DEP_1) | instskip(SKIP_2) | instid1(VALU_DEP_2)
	v_cndmask_b32_e32 v31, 0x7ff00000, v31, vcc_lo
	s_and_b32 vcc_lo, s0, vcc_lo
	s_wait_alu 0xfffe
	v_cndmask_b32_e32 v142, 0, v30, vcc_lo
	s_delay_alu instid0(VALU_DEP_2) | instskip(SKIP_4) | instid1(VALU_DEP_1)
	v_cndmask_b32_e64 v143, 0, v31, s0
	s_mov_b32 s0, 0xeb1c432d
	s_mov_b32 s1, 0x3f2a36e2
	s_wait_alu 0xfffe
	v_mul_f64_e32 v[18:19], s[0:1], v[138:139]
	v_fma_f64 v[18:19], v[2:3], s[0:1], -v[18:19]
	s_delay_alu instid0(VALU_DEP_1) | instskip(SKIP_2) | instid1(VALU_DEP_3)
	v_mul_f64_e32 v[30:31], s[2:3], v[18:19]
	v_cmp_nlt_f64_e32 vcc_lo, 0x40900000, v[18:19]
	v_cmp_ngt_f64_e64 s0, 0xc090cc00, v[18:19]
	v_rndne_f64_e32 v[30:31], v[30:31]
	s_delay_alu instid0(VALU_DEP_1) | instskip(NEXT) | instid1(VALU_DEP_1)
	v_fma_f64 v[44:45], v[30:31], s[4:5], v[18:19]
	v_fma_f64 v[44:45], v[30:31], s[6:7], v[44:45]
	v_cvt_i32_f64_e32 v30, v[30:31]
	s_delay_alu instid0(VALU_DEP_2) | instskip(NEXT) | instid1(VALU_DEP_1)
	v_fma_f64 v[64:65], v[44:45], s[14:15], s[8:9]
	v_fma_f64 v[64:65], v[44:45], v[64:65], s[16:17]
	s_delay_alu instid0(VALU_DEP_1) | instskip(NEXT) | instid1(VALU_DEP_1)
	v_fma_f64 v[64:65], v[44:45], v[64:65], s[18:19]
	v_fma_f64 v[64:65], v[44:45], v[64:65], s[20:21]
	s_delay_alu instid0(VALU_DEP_1) | instskip(NEXT) | instid1(VALU_DEP_1)
	;; [unrolled: 3-line block ×4, first 2 shown]
	v_fma_f64 v[64:65], v[44:45], v[64:65], s[30:31]
	v_fma_f64 v[64:65], v[44:45], v[64:65], 1.0
	s_delay_alu instid0(VALU_DEP_1) | instskip(NEXT) | instid1(VALU_DEP_1)
	v_fma_f64 v[44:45], v[44:45], v[64:65], 1.0
	v_ldexp_f64 v[30:31], v[44:45], v30
	s_wait_alu 0xfffd
	s_delay_alu instid0(VALU_DEP_1) | instskip(SKIP_2) | instid1(VALU_DEP_2)
	v_cndmask_b32_e32 v31, 0x7ff00000, v31, vcc_lo
	s_and_b32 vcc_lo, s0, vcc_lo
	s_wait_alu 0xfffe
	v_cndmask_b32_e32 v82, 0, v30, vcc_lo
	s_delay_alu instid0(VALU_DEP_2) | instskip(SKIP_3) | instid1(VALU_DEP_1)
	v_cndmask_b32_e64 v83, 0, v31, s0
	s_mov_b32 s0, 0xf5e201d1
	s_mov_b32 s1, 0x40087c1d
	s_wait_alu 0xfffe
	v_mul_f64_e32 v[18:19], s[0:1], v[82:83]
	s_mov_b32 s0, 0x362cef32
	s_mov_b32 s1, 0x3fd78b56
	s_wait_alu 0xfffe
	s_delay_alu instid0(VALU_DEP_1) | instskip(SKIP_1) | instid1(VALU_DEP_1)
	v_fma_f64 v[144:145], v[142:143], s[0:1], v[18:19]
	v_mul_f64_e32 v[18:19], 0.5, v[2:3]
	v_fma_f64 v[18:19], v[138:139], 0.5, -v[18:19]
	s_delay_alu instid0(VALU_DEP_1)
	v_mul_f64_e32 v[30:31], s[2:3], v[18:19]
	v_cmp_nlt_f64_e32 vcc_lo, 0x40900000, v[18:19]
	v_cmp_ngt_f64_e64 s0, 0xc090cc00, v[18:19]
	s_mov_b32 s2, 0x54aa4deb
	s_mov_b32 s3, 0x4025dfe9
	v_rndne_f64_e32 v[30:31], v[30:31]
	s_delay_alu instid0(VALU_DEP_1) | instskip(NEXT) | instid1(VALU_DEP_1)
	v_fma_f64 v[44:45], v[30:31], s[4:5], v[18:19]
	v_fma_f64 v[44:45], v[30:31], s[6:7], v[44:45]
	v_cvt_i32_f64_e32 v30, v[30:31]
	s_delay_alu instid0(VALU_DEP_2) | instskip(NEXT) | instid1(VALU_DEP_1)
	v_fma_f64 v[64:65], v[44:45], s[14:15], s[8:9]
	v_fma_f64 v[64:65], v[44:45], v[64:65], s[16:17]
	s_delay_alu instid0(VALU_DEP_1) | instskip(NEXT) | instid1(VALU_DEP_1)
	v_fma_f64 v[64:65], v[44:45], v[64:65], s[18:19]
	v_fma_f64 v[64:65], v[44:45], v[64:65], s[20:21]
	s_delay_alu instid0(VALU_DEP_1) | instskip(NEXT) | instid1(VALU_DEP_1)
	;; [unrolled: 3-line block ×4, first 2 shown]
	v_fma_f64 v[64:65], v[44:45], v[64:65], s[30:31]
	v_fma_f64 v[64:65], v[44:45], v[64:65], 1.0
	s_delay_alu instid0(VALU_DEP_1) | instskip(NEXT) | instid1(VALU_DEP_1)
	v_fma_f64 v[44:45], v[44:45], v[64:65], 1.0
	v_ldexp_f64 v[30:31], v[44:45], v30
	s_wait_alu 0xfffd
	s_delay_alu instid0(VALU_DEP_1) | instskip(SKIP_2) | instid1(VALU_DEP_2)
	v_cndmask_b32_e32 v31, 0x7ff00000, v31, vcc_lo
	s_and_b32 vcc_lo, s0, vcc_lo
	s_wait_alu 0xfffe
	v_cndmask_b32_e32 v154, 0, v30, vcc_lo
	s_delay_alu instid0(VALU_DEP_2) | instskip(SKIP_2) | instid1(VALU_DEP_1)
	v_cndmask_b32_e64 v155, 0, v31, s0
	s_mov_b32 s0, 0xf62f0be
	s_mov_b32 s1, 0x3fdb8a8d
	v_add_f64_e32 v[138:139], 1.0, v[154:155]
	s_delay_alu instid0(VALU_DEP_1) | instskip(NEXT) | instid1(VALU_DEP_1)
	v_div_scale_f64 v[18:19], null, v[138:139], v[138:139], v[144:145]
	v_rcp_f64_e32 v[30:31], v[18:19]
	s_delay_alu instid0(TRANS32_DEP_1) | instskip(NEXT) | instid1(VALU_DEP_1)
	v_fma_f64 v[44:45], -v[18:19], v[30:31], 1.0
	v_fma_f64 v[30:31], v[30:31], v[44:45], v[30:31]
	s_delay_alu instid0(VALU_DEP_1) | instskip(NEXT) | instid1(VALU_DEP_1)
	v_fma_f64 v[44:45], -v[18:19], v[30:31], 1.0
	v_fma_f64 v[30:31], v[30:31], v[44:45], v[30:31]
	v_div_scale_f64 v[44:45], vcc_lo, v[144:145], v[138:139], v[144:145]
	s_delay_alu instid0(VALU_DEP_1) | instskip(NEXT) | instid1(VALU_DEP_1)
	v_mul_f64_e32 v[64:65], v[44:45], v[30:31]
	v_fma_f64 v[18:19], -v[18:19], v[64:65], v[44:45]
	s_wait_alu 0xfffd
	s_delay_alu instid0(VALU_DEP_1) | instskip(NEXT) | instid1(VALU_DEP_1)
	v_div_fmas_f64 v[18:19], v[18:19], v[30:31], v[64:65]
	v_div_fixup_f64 v[18:19], v[18:19], v[138:139], v[144:145]
	s_delay_alu instid0(VALU_DEP_1) | instskip(NEXT) | instid1(VALU_DEP_1)
	v_add_f64_e32 v[184:185], v[140:141], v[18:19]
	v_div_scale_f64 v[18:19], null, v[184:185], v[184:185], v[140:141]
	s_delay_alu instid0(VALU_DEP_1) | instskip(NEXT) | instid1(TRANS32_DEP_1)
	v_rcp_f64_e32 v[30:31], v[18:19]
	v_fma_f64 v[44:45], -v[18:19], v[30:31], 1.0
	s_delay_alu instid0(VALU_DEP_1) | instskip(NEXT) | instid1(VALU_DEP_1)
	v_fma_f64 v[30:31], v[30:31], v[44:45], v[30:31]
	v_fma_f64 v[44:45], -v[18:19], v[30:31], 1.0
	s_delay_alu instid0(VALU_DEP_1) | instskip(SKIP_1) | instid1(VALU_DEP_1)
	v_fma_f64 v[30:31], v[30:31], v[44:45], v[30:31]
	v_div_scale_f64 v[44:45], vcc_lo, v[140:141], v[184:185], v[140:141]
	v_mul_f64_e32 v[64:65], v[44:45], v[30:31]
	s_delay_alu instid0(VALU_DEP_1) | instskip(SKIP_1) | instid1(VALU_DEP_1)
	v_fma_f64 v[18:19], -v[18:19], v[64:65], v[44:45]
	s_wait_alu 0xfffd
	v_div_fmas_f64 v[18:19], v[18:19], v[30:31], v[64:65]
	v_cmp_gt_f64_e32 vcc_lo, 0x10000000, v[76:77]
	s_delay_alu instid0(VALU_DEP_2) | instskip(SKIP_4) | instid1(VALU_DEP_1)
	v_div_fixup_f64 v[148:149], v[18:19], v[184:185], v[140:141]
	s_wait_alu 0xfffd
	v_cndmask_b32_e64 v30, 0, 0x100, vcc_lo
	scratch_load_b64 v[18:19], off, off offset:32 th:TH_LOAD_LU ; 8-byte Folded Reload
	v_ldexp_f64 v[30:31], v[76:77], v30
	v_rsq_f64_e32 v[44:45], v[30:31]
	s_delay_alu instid0(TRANS32_DEP_1) | instskip(SKIP_1) | instid1(VALU_DEP_1)
	v_mul_f64_e32 v[64:65], v[30:31], v[44:45]
	v_mul_f64_e32 v[44:45], 0.5, v[44:45]
	v_fma_f64 v[66:67], -v[44:45], v[64:65], 0.5
	s_delay_alu instid0(VALU_DEP_1) | instskip(SKIP_1) | instid1(VALU_DEP_2)
	v_fma_f64 v[64:65], v[64:65], v[66:67], v[64:65]
	v_fma_f64 v[44:45], v[44:45], v[66:67], v[44:45]
	v_fma_f64 v[68:69], -v[64:65], v[64:65], v[30:31]
	s_delay_alu instid0(VALU_DEP_1) | instskip(NEXT) | instid1(VALU_DEP_1)
	v_fma_f64 v[64:65], v[68:69], v[44:45], v[64:65]
	v_fma_f64 v[66:67], -v[64:65], v[64:65], v[30:31]
	s_delay_alu instid0(VALU_DEP_1)
	v_fma_f64 v[44:45], v[66:67], v[44:45], v[64:65]
	v_cndmask_b32_e64 v64, 0, 0xffffff80, vcc_lo
	v_cmp_class_f64_e64 vcc_lo, v[30:31], 0x260
	s_wait_loadcnt 0x0
	s_wait_alu 0xfffe
	v_mul_f64_e32 v[18:19], s[0:1], v[18:19]
	s_delay_alu instid0(VALU_DEP_4) | instskip(SKIP_1) | instid1(VALU_DEP_1)
	v_ldexp_f64 v[44:45], v[44:45], v64
	s_wait_alu 0xfffd
	v_dual_cndmask_b32 v31, v45, v31 :: v_dual_cndmask_b32 v30, v44, v30
	s_delay_alu instid0(VALU_DEP_1) | instskip(SKIP_4) | instid1(VALU_DEP_1)
	v_mul_f64_e32 v[182:183], v[18:19], v[30:31]
	scratch_load_b64 v[18:19], off, off offset:24 th:TH_LOAD_LU ; 8-byte Folded Reload
	v_mul_f64_e32 v[66:67], v[182:183], v[132:133]
	s_wait_loadcnt 0x0
	v_mul_f64_e32 v[18:19], s[0:1], v[18:19]
	v_mul_f64_e32 v[76:77], v[18:19], v[30:31]
	s_delay_alu instid0(VALU_DEP_1) | instskip(NEXT) | instid1(VALU_DEP_1)
	v_mul_f64_e32 v[18:19], v[76:77], v[132:133]
	v_mul_f64_e32 v[64:65], v[32:33], v[18:19]
	v_add_f64_e32 v[18:19], v[26:27], v[134:135]
	v_mul_f64_e32 v[32:33], v[32:33], v[76:77]
	global_store_b64 v[56:57], v[18:19], off
	v_div_scale_f64 v[18:19], null, v[74:75], v[74:75], s[10:11]
	s_delay_alu instid0(VALU_DEP_1) | instskip(NEXT) | instid1(TRANS32_DEP_1)
	v_rcp_f64_e32 v[30:31], v[18:19]
	v_fma_f64 v[44:45], -v[18:19], v[30:31], 1.0
	s_delay_alu instid0(VALU_DEP_1) | instskip(NEXT) | instid1(VALU_DEP_1)
	v_fma_f64 v[30:31], v[30:31], v[44:45], v[30:31]
	v_fma_f64 v[44:45], -v[18:19], v[30:31], 1.0
	s_delay_alu instid0(VALU_DEP_1) | instskip(SKIP_1) | instid1(VALU_DEP_1)
	v_fma_f64 v[30:31], v[30:31], v[44:45], v[30:31]
	v_div_scale_f64 v[44:45], vcc_lo, s[10:11], v[74:75], s[10:11]
	v_mul_f64_e32 v[56:57], v[44:45], v[30:31]
	s_delay_alu instid0(VALU_DEP_1) | instskip(SKIP_1) | instid1(VALU_DEP_1)
	v_fma_f64 v[18:19], -v[18:19], v[56:57], v[44:45]
	s_wait_alu 0xfffd
	v_div_fmas_f64 v[18:19], v[18:19], v[30:31], v[56:57]
	s_clause 0x1
	scratch_load_b64 v[30:31], off, off offset:48 th:TH_LOAD_LU
	scratch_load_b64 v[44:45], off, off offset:56 th:TH_LOAD_LU
	v_div_fixup_f64 v[18:19], v[18:19], v[74:75], s[10:11]
	s_delay_alu instid0(VALU_DEP_1) | instskip(NEXT) | instid1(VALU_DEP_1)
	v_floor_f64_e32 v[18:19], v[18:19]
	v_fma_f64 v[18:19], -v[74:75], v[18:19], s[10:11]
	s_wait_loadcnt 0x0
	v_add_f64_e32 v[30:31], v[30:31], v[44:45]
	s_delay_alu instid0(VALU_DEP_2) | instskip(NEXT) | instid1(VALU_DEP_2)
	v_cmp_nge_f64_e64 s0, v[18:19], v[44:45]
	v_cmp_nle_f64_e32 vcc_lo, v[18:19], v[30:31]
	scratch_load_b64 v[30:31], off, off offset:40 th:TH_LOAD_LU ; 8-byte Folded Reload
	s_or_b32 s0, vcc_lo, s0
	s_wait_loadcnt 0x0
	v_xor_b32_e32 v18, 0x80000000, v31
	s_wait_alu 0xfffe
	v_cndmask_b32_e64 v68, v30, 0, s0
	v_mul_f64_e32 v[30:31], v[180:181], v[180:181]
	s_delay_alu instid0(VALU_DEP_3) | instskip(SKIP_3) | instid1(VALU_DEP_1)
	v_cndmask_b32_e64 v69, v18, 0, s0
	v_fma_f64 v[18:19], -v[66:67], v[148:149], -v[130:131]
	s_mov_b32 s0, 0x85944719
	s_mov_b32 s1, 0x3e63cab9
	v_fma_f64 v[18:19], -v[12:13], v[64:65], v[18:19]
	s_delay_alu instid0(VALU_DEP_1) | instskip(NEXT) | instid1(VALU_DEP_1)
	v_fma_f64 v[18:19], -v[78:79], v[110:111], v[18:19]
	v_add_f64_e64 v[18:19], v[18:19], -v[108:109]
	s_delay_alu instid0(VALU_DEP_1) | instskip(NEXT) | instid1(VALU_DEP_1)
	v_add_f64_e64 v[18:19], v[18:19], -v[178:179]
	v_add_f64_e64 v[18:19], v[18:19], -v[94:95]
	s_delay_alu instid0(VALU_DEP_1) | instskip(NEXT) | instid1(VALU_DEP_1)
	v_add_f64_e64 v[18:19], v[18:19], -v[68:69]
	;; [unrolled: 3-line block ×4, first 2 shown]
	v_fma_f64 v[70:71], -v[8:9], v[106:107], v[18:19]
	s_wait_alu 0xfffe
	v_mul_f64_e32 v[18:19], s[0:1], v[150:151]
	s_delay_alu instid0(VALU_DEP_1) | instskip(NEXT) | instid1(VALU_DEP_1)
	v_div_scale_f64 v[44:45], null, v[30:31], v[30:31], v[18:19]
	v_rcp_f64_e32 v[56:57], v[44:45]
	s_delay_alu instid0(TRANS32_DEP_1) | instskip(NEXT) | instid1(VALU_DEP_1)
	v_fma_f64 v[72:73], -v[44:45], v[56:57], 1.0
	v_fma_f64 v[56:57], v[56:57], v[72:73], v[56:57]
	s_delay_alu instid0(VALU_DEP_1) | instskip(NEXT) | instid1(VALU_DEP_1)
	v_fma_f64 v[72:73], -v[44:45], v[56:57], 1.0
	v_fma_f64 v[56:57], v[56:57], v[72:73], v[56:57]
	v_div_scale_f64 v[72:73], vcc_lo, v[18:19], v[30:31], v[18:19]
	s_delay_alu instid0(VALU_DEP_1) | instskip(NEXT) | instid1(VALU_DEP_1)
	v_mul_f64_e32 v[74:75], v[72:73], v[56:57]
	v_fma_f64 v[44:45], -v[44:45], v[74:75], v[72:73]
	s_wait_alu 0xfffd
	s_delay_alu instid0(VALU_DEP_1) | instskip(NEXT) | instid1(VALU_DEP_1)
	v_div_fmas_f64 v[44:45], v[44:45], v[56:57], v[74:75]
	v_div_fixup_f64 v[56:57], v[44:45], v[30:31], v[18:19]
	v_mul_f64_e32 v[18:19], v[48:49], v[128:129]
	s_delay_alu instid0(VALU_DEP_1) | instskip(NEXT) | instid1(VALU_DEP_1)
	v_mul_f64_e32 v[18:19], v[46:47], v[18:19]
	v_mul_f64_e32 v[18:19], v[50:51], v[18:19]
	s_delay_alu instid0(VALU_DEP_1) | instskip(NEXT) | instid1(VALU_DEP_1)
	v_mul_f64_e32 v[18:19], v[52:53], v[18:19]
	v_div_scale_f64 v[30:31], null, v[126:127], v[126:127], v[18:19]
	s_delay_alu instid0(VALU_DEP_1) | instskip(NEXT) | instid1(TRANS32_DEP_1)
	v_rcp_f64_e32 v[44:45], v[30:31]
	v_fma_f64 v[72:73], -v[30:31], v[44:45], 1.0
	s_delay_alu instid0(VALU_DEP_1) | instskip(NEXT) | instid1(VALU_DEP_1)
	v_fma_f64 v[44:45], v[44:45], v[72:73], v[44:45]
	v_fma_f64 v[72:73], -v[30:31], v[44:45], 1.0
	s_delay_alu instid0(VALU_DEP_1) | instskip(SKIP_1) | instid1(VALU_DEP_1)
	v_fma_f64 v[44:45], v[44:45], v[72:73], v[44:45]
	v_div_scale_f64 v[72:73], vcc_lo, v[18:19], v[126:127], v[18:19]
	v_mul_f64_e32 v[74:75], v[72:73], v[44:45]
	s_delay_alu instid0(VALU_DEP_1) | instskip(SKIP_1) | instid1(VALU_DEP_1)
	v_fma_f64 v[30:31], -v[30:31], v[74:75], v[72:73]
	s_wait_alu 0xfffd
	v_div_fmas_f64 v[30:31], v[30:31], v[44:45], v[74:75]
	v_mul_f64_e32 v[44:45], v[16:17], v[118:119]
	s_delay_alu instid0(VALU_DEP_2) | instskip(SKIP_1) | instid1(VALU_DEP_1)
	v_div_fixup_f64 v[18:19], v[30:31], v[126:127], v[18:19]
	v_ldexp_f64 v[30:31], v[54:55], 3
	v_mul_f64_e32 v[30:31], v[30:31], v[44:45]
	s_delay_alu instid0(VALU_DEP_1) | instskip(NEXT) | instid1(VALU_DEP_1)
	v_mul_f64_e32 v[30:31], v[30:31], v[124:125]
	v_mul_f64_e32 v[30:31], v[116:117], v[30:31]
	s_delay_alu instid0(VALU_DEP_1) | instskip(NEXT) | instid1(VALU_DEP_1)
	v_mul_f64_e32 v[30:31], v[48:49], v[30:31]
	v_mul_f64_e32 v[30:31], v[120:121], v[30:31]
	s_delay_alu instid0(VALU_DEP_1) | instskip(NEXT) | instid1(VALU_DEP_1)
	v_mul_f64_e32 v[30:31], v[46:47], v[30:31]
	v_mul_f64_e32 v[30:31], v[50:51], v[30:31]
	s_delay_alu instid0(VALU_DEP_1) | instskip(NEXT) | instid1(VALU_DEP_1)
	v_mul_f64_e32 v[30:31], v[52:53], v[30:31]
	v_div_scale_f64 v[72:73], null, v[62:63], v[62:63], v[30:31]
	s_delay_alu instid0(VALU_DEP_1) | instskip(NEXT) | instid1(TRANS32_DEP_1)
	v_rcp_f64_e32 v[74:75], v[72:73]
	v_fma_f64 v[108:109], -v[72:73], v[74:75], 1.0
	s_delay_alu instid0(VALU_DEP_1) | instskip(NEXT) | instid1(VALU_DEP_1)
	v_fma_f64 v[74:75], v[74:75], v[108:109], v[74:75]
	v_fma_f64 v[108:109], -v[72:73], v[74:75], 1.0
	s_delay_alu instid0(VALU_DEP_1) | instskip(SKIP_1) | instid1(VALU_DEP_1)
	v_fma_f64 v[74:75], v[74:75], v[108:109], v[74:75]
	v_div_scale_f64 v[108:109], vcc_lo, v[30:31], v[62:63], v[30:31]
	v_mul_f64_e32 v[112:113], v[108:109], v[74:75]
	s_delay_alu instid0(VALU_DEP_1) | instskip(SKIP_1) | instid1(VALU_DEP_1)
	v_fma_f64 v[72:73], -v[72:73], v[112:113], v[108:109]
	s_wait_alu 0xfffd
	v_div_fmas_f64 v[72:73], v[72:73], v[74:75], v[112:113]
	s_delay_alu instid0(VALU_DEP_1) | instskip(NEXT) | instid1(VALU_DEP_1)
	v_div_fixup_f64 v[30:31], v[72:73], v[62:63], v[30:31]
	v_add_f64_e64 v[18:19], v[18:19], -v[30:31]
	v_add_f64_e32 v[30:31], v[54:55], v[54:55]
	s_delay_alu instid0(VALU_DEP_1) | instskip(SKIP_1) | instid1(VALU_DEP_2)
	v_mul_f64_e32 v[30:31], v[30:31], v[44:45]
	v_mul_f64_e32 v[44:45], v[60:61], v[122:123]
	;; [unrolled: 1-line block ×3, first 2 shown]
	s_delay_alu instid0(VALU_DEP_1) | instskip(NEXT) | instid1(VALU_DEP_1)
	v_mul_f64_e32 v[30:31], v[116:117], v[30:31]
	v_mul_f64_e32 v[30:31], v[48:49], v[30:31]
	s_delay_alu instid0(VALU_DEP_1) | instskip(NEXT) | instid1(VALU_DEP_1)
	v_mul_f64_e32 v[30:31], v[30:31], v[120:121]
	v_mul_f64_e32 v[30:31], v[46:47], v[30:31]
	;; [unrolled: 3-line block ×3, first 2 shown]
	s_delay_alu instid0(VALU_DEP_1) | instskip(NEXT) | instid1(VALU_DEP_1)
	v_div_scale_f64 v[46:47], null, v[44:45], v[44:45], v[30:31]
	v_rcp_f64_e32 v[48:49], v[46:47]
	s_delay_alu instid0(TRANS32_DEP_1) | instskip(NEXT) | instid1(VALU_DEP_1)
	v_fma_f64 v[50:51], -v[46:47], v[48:49], 1.0
	v_fma_f64 v[48:49], v[48:49], v[50:51], v[48:49]
	s_delay_alu instid0(VALU_DEP_1) | instskip(NEXT) | instid1(VALU_DEP_1)
	v_fma_f64 v[50:51], -v[46:47], v[48:49], 1.0
	v_fma_f64 v[48:49], v[48:49], v[50:51], v[48:49]
	v_div_scale_f64 v[50:51], vcc_lo, v[30:31], v[44:45], v[30:31]
	s_delay_alu instid0(VALU_DEP_1) | instskip(NEXT) | instid1(VALU_DEP_1)
	v_mul_f64_e32 v[52:53], v[50:51], v[48:49]
	v_fma_f64 v[46:47], -v[46:47], v[52:53], v[50:51]
	s_wait_alu 0xfffd
	s_delay_alu instid0(VALU_DEP_1) | instskip(NEXT) | instid1(VALU_DEP_1)
	v_div_fmas_f64 v[46:47], v[46:47], v[48:49], v[52:53]
	v_div_fixup_f64 v[30:31], v[46:47], v[44:45], v[30:31]
	s_delay_alu instid0(VALU_DEP_1) | instskip(SKIP_1) | instid1(VALU_DEP_1)
	v_add_f64_e32 v[72:73], v[30:31], v[18:19]
	v_div_scale_f64 v[18:19], null, v[90:91], v[90:91], v[10:11]
	v_rcp_f64_e32 v[30:31], v[18:19]
	s_delay_alu instid0(TRANS32_DEP_1) | instskip(NEXT) | instid1(VALU_DEP_1)
	v_fma_f64 v[44:45], -v[18:19], v[30:31], 1.0
	v_fma_f64 v[30:31], v[30:31], v[44:45], v[30:31]
	s_delay_alu instid0(VALU_DEP_1) | instskip(NEXT) | instid1(VALU_DEP_1)
	v_fma_f64 v[44:45], -v[18:19], v[30:31], 1.0
	v_fma_f64 v[46:47], v[30:31], v[44:45], v[30:31]
	v_div_scale_f64 v[30:31], s0, v[10:11], v[90:91], v[10:11]
	v_mul_f64_e32 v[44:45], v[90:91], v[90:91]
	s_mov_b32 vcc_lo, s0
	s_delay_alu instid0(VALU_DEP_2) | instskip(NEXT) | instid1(VALU_DEP_1)
	v_mul_f64_e32 v[48:49], v[30:31], v[46:47]
	v_fma_f64 v[50:51], -v[18:19], v[48:49], v[30:31]
	v_mul_f64_e32 v[30:31], s[2:3], v[10:11]
	s_mov_b32 s2, 0x91bd8c28
	s_mov_b32 s3, 0x3fa2d5de
	s_wait_alu 0xfffe
	v_mul_f64_e32 v[62:63], s[2:3], v[142:143]
	s_mov_b32 s2, 0x6acf4366
	s_mov_b32 s3, 0x3f440ed7
	s_delay_alu instid0(VALU_DEP_3) | instskip(NEXT) | instid1(VALU_DEP_3)
	v_div_fmas_f64 v[18:19], v[50:51], v[46:47], v[48:49]
	v_mul_f64_e32 v[30:31], v[30:31], v[132:133]
	s_delay_alu instid0(VALU_DEP_2) | instskip(NEXT) | instid1(VALU_DEP_2)
	v_div_fixup_f64 v[18:19], v[18:19], v[90:91], v[10:11]
	v_mul_f64_e32 v[30:31], v[136:137], v[30:31]
	s_delay_alu instid0(VALU_DEP_1) | instskip(NEXT) | instid1(VALU_DEP_1)
	v_div_scale_f64 v[52:53], null, v[44:45], v[44:45], v[30:31]
	v_rcp_f64_e32 v[54:55], v[52:53]
	s_delay_alu instid0(TRANS32_DEP_1) | instskip(NEXT) | instid1(VALU_DEP_1)
	v_fma_f64 v[58:59], -v[52:53], v[54:55], 1.0
	v_fma_f64 v[54:55], v[54:55], v[58:59], v[54:55]
	s_delay_alu instid0(VALU_DEP_1) | instskip(NEXT) | instid1(VALU_DEP_1)
	v_fma_f64 v[58:59], -v[52:53], v[54:55], 1.0
	v_fma_f64 v[54:55], v[54:55], v[58:59], v[54:55]
	v_div_scale_f64 v[58:59], vcc_lo, v[30:31], v[44:45], v[30:31]
	s_delay_alu instid0(VALU_DEP_1) | instskip(NEXT) | instid1(VALU_DEP_1)
	v_mul_f64_e32 v[60:61], v[58:59], v[54:55]
	v_fma_f64 v[52:53], -v[52:53], v[60:61], v[58:59]
	s_wait_alu 0xfffd
	s_delay_alu instid0(VALU_DEP_1) | instskip(NEXT) | instid1(VALU_DEP_1)
	v_div_fmas_f64 v[52:53], v[52:53], v[54:55], v[60:61]
	v_div_fixup_f64 v[30:31], v[52:53], v[44:45], v[30:31]
	s_delay_alu instid0(VALU_DEP_1) | instskip(SKIP_1) | instid1(VALU_DEP_1)
	v_add_f64_e32 v[74:75], v[18:19], v[30:31]
	v_mul_f64_e32 v[18:19], v[184:185], v[184:185]
	v_div_scale_f64 v[30:31], null, v[18:19], v[18:19], -v[140:141]
	s_delay_alu instid0(VALU_DEP_1) | instskip(NEXT) | instid1(TRANS32_DEP_1)
	v_rcp_f64_e32 v[44:45], v[30:31]
	v_fma_f64 v[52:53], -v[30:31], v[44:45], 1.0
	s_delay_alu instid0(VALU_DEP_1) | instskip(NEXT) | instid1(VALU_DEP_1)
	v_fma_f64 v[44:45], v[44:45], v[52:53], v[44:45]
	v_fma_f64 v[52:53], -v[30:31], v[44:45], 1.0
	s_delay_alu instid0(VALU_DEP_1) | instskip(SKIP_1) | instid1(VALU_DEP_1)
	v_fma_f64 v[44:45], v[44:45], v[52:53], v[44:45]
	v_div_scale_f64 v[52:53], vcc_lo, -v[140:141], v[18:19], -v[140:141]
	v_mul_f64_e32 v[54:55], v[52:53], v[44:45]
	s_delay_alu instid0(VALU_DEP_1) | instskip(SKIP_1) | instid1(VALU_DEP_1)
	v_fma_f64 v[30:31], -v[30:31], v[54:55], v[52:53]
	s_wait_alu 0xfffd
	v_div_fmas_f64 v[30:31], v[30:31], v[44:45], v[54:55]
	s_delay_alu instid0(VALU_DEP_1) | instskip(SKIP_1) | instid1(VALU_DEP_1)
	v_div_fixup_f64 v[44:45], v[30:31], v[18:19], -v[140:141]
	v_div_scale_f64 v[30:31], null, v[184:185], v[184:185], 1.0
	v_rcp_f64_e32 v[52:53], v[30:31]
	s_delay_alu instid0(TRANS32_DEP_1) | instskip(NEXT) | instid1(VALU_DEP_1)
	v_fma_f64 v[54:55], -v[30:31], v[52:53], 1.0
	v_fma_f64 v[52:53], v[52:53], v[54:55], v[52:53]
	s_delay_alu instid0(VALU_DEP_1) | instskip(NEXT) | instid1(VALU_DEP_1)
	v_fma_f64 v[54:55], -v[30:31], v[52:53], 1.0
	v_fma_f64 v[52:53], v[52:53], v[54:55], v[52:53]
	v_div_scale_f64 v[54:55], vcc_lo, 1.0, v[184:185], 1.0
	s_delay_alu instid0(VALU_DEP_1) | instskip(NEXT) | instid1(VALU_DEP_1)
	v_mul_f64_e32 v[58:59], v[54:55], v[52:53]
	v_fma_f64 v[30:31], -v[30:31], v[58:59], v[54:55]
	s_wait_alu 0xfffd
	s_delay_alu instid0(VALU_DEP_1) | instskip(SKIP_1) | instid1(VALU_DEP_2)
	v_div_fmas_f64 v[30:31], v[30:31], v[52:53], v[58:59]
	v_div_scale_f64 v[52:53], null, v[18:19], v[18:19], v[140:141]
	v_div_fixup_f64 v[30:31], v[30:31], v[184:185], 1.0
	s_delay_alu instid0(VALU_DEP_2) | instskip(NEXT) | instid1(TRANS32_DEP_1)
	v_rcp_f64_e32 v[54:55], v[52:53]
	v_fma_f64 v[58:59], -v[52:53], v[54:55], 1.0
	s_delay_alu instid0(VALU_DEP_1) | instskip(NEXT) | instid1(VALU_DEP_1)
	v_fma_f64 v[54:55], v[54:55], v[58:59], v[54:55]
	v_fma_f64 v[58:59], -v[52:53], v[54:55], 1.0
	s_delay_alu instid0(VALU_DEP_1) | instskip(SKIP_1) | instid1(VALU_DEP_1)
	v_fma_f64 v[54:55], v[54:55], v[58:59], v[54:55]
	v_div_scale_f64 v[58:59], vcc_lo, v[140:141], v[18:19], v[140:141]
	v_mul_f64_e32 v[60:61], v[58:59], v[54:55]
	s_delay_alu instid0(VALU_DEP_1) | instskip(SKIP_1) | instid1(VALU_DEP_1)
	v_fma_f64 v[52:53], -v[52:53], v[60:61], v[58:59]
	s_wait_alu 0xfffd
	v_div_fmas_f64 v[52:53], v[52:53], v[54:55], v[60:61]
	s_delay_alu instid0(VALU_DEP_1) | instskip(NEXT) | instid1(VALU_DEP_1)
	v_div_fixup_f64 v[18:19], v[52:53], v[18:19], v[140:141]
	v_add_f64_e64 v[52:53], v[30:31], -v[18:19]
	s_wait_alu 0xfffe
	v_fma_f64 v[18:19], v[82:83], s[2:3], v[62:63]
	s_mov_b32 s2, 0x7318fc50
	s_mov_b32 s3, 0x3fa212d7
	s_delay_alu instid0(VALU_DEP_1) | instskip(NEXT) | instid1(VALU_DEP_1)
	v_div_scale_f64 v[30:31], null, v[138:139], v[138:139], v[18:19]
	v_rcp_f64_e32 v[54:55], v[30:31]
	s_delay_alu instid0(TRANS32_DEP_1) | instskip(NEXT) | instid1(VALU_DEP_1)
	v_fma_f64 v[58:59], -v[30:31], v[54:55], 1.0
	v_fma_f64 v[54:55], v[54:55], v[58:59], v[54:55]
	s_delay_alu instid0(VALU_DEP_1) | instskip(NEXT) | instid1(VALU_DEP_1)
	v_fma_f64 v[58:59], -v[30:31], v[54:55], 1.0
	v_fma_f64 v[54:55], v[54:55], v[58:59], v[54:55]
	v_div_scale_f64 v[58:59], vcc_lo, v[18:19], v[138:139], v[18:19]
	s_delay_alu instid0(VALU_DEP_1) | instskip(NEXT) | instid1(VALU_DEP_1)
	v_mul_f64_e32 v[60:61], v[58:59], v[54:55]
	v_fma_f64 v[30:31], -v[30:31], v[60:61], v[58:59]
	s_wait_alu 0xfffd
	s_delay_alu instid0(VALU_DEP_1) | instskip(SKIP_1) | instid1(VALU_DEP_2)
	v_div_fmas_f64 v[30:31], v[30:31], v[54:55], v[60:61]
	v_mul_f64_e32 v[54:55], v[138:139], v[138:139]
	v_div_fixup_f64 v[18:19], v[30:31], v[138:139], v[18:19]
	v_mul_f64_e32 v[30:31], 0.5, v[144:145]
	s_delay_alu instid0(VALU_DEP_1) | instskip(NEXT) | instid1(VALU_DEP_1)
	v_mul_f64_e32 v[30:31], v[154:155], v[30:31]
	v_div_scale_f64 v[58:59], null, v[54:55], v[54:55], v[30:31]
	s_delay_alu instid0(VALU_DEP_1) | instskip(NEXT) | instid1(TRANS32_DEP_1)
	v_rcp_f64_e32 v[60:61], v[58:59]
	v_fma_f64 v[108:109], -v[58:59], v[60:61], 1.0
	s_delay_alu instid0(VALU_DEP_1) | instskip(NEXT) | instid1(VALU_DEP_1)
	v_fma_f64 v[60:61], v[60:61], v[108:109], v[60:61]
	v_fma_f64 v[108:109], -v[58:59], v[60:61], 1.0
	s_delay_alu instid0(VALU_DEP_1) | instskip(SKIP_1) | instid1(VALU_DEP_1)
	v_fma_f64 v[60:61], v[60:61], v[108:109], v[60:61]
	v_div_scale_f64 v[108:109], vcc_lo, v[30:31], v[54:55], v[30:31]
	v_mul_f64_e32 v[112:113], v[108:109], v[60:61]
	s_delay_alu instid0(VALU_DEP_1) | instskip(SKIP_3) | instid1(VALU_DEP_3)
	v_fma_f64 v[58:59], -v[58:59], v[112:113], v[108:109]
	v_cndmask_b32_e64 v109, 0x3ff00000, 0, s33
	v_mov_b32_e32 v108, 0
	s_wait_alu 0xfffd
	v_div_fmas_f64 v[58:59], v[58:59], v[60:61], v[112:113]
	s_delay_alu instid0(VALU_DEP_1) | instskip(SKIP_2) | instid1(VALU_DEP_3)
	v_div_fixup_f64 v[60:61], v[58:59], v[54:55], v[30:31]
	v_mul_f64_e32 v[58:59], v[56:57], v[52:53]
	v_mul_f64_e32 v[54:55], v[182:183], v[148:149]
	v_add_f64_e32 v[18:19], v[18:19], v[60:61]
	s_delay_alu instid0(VALU_DEP_1) | instskip(SKIP_4) | instid1(VALU_DEP_2)
	v_fma_f64 v[112:113], v[18:19], v[44:45], -v[58:59]
	s_wait_alu 0xfffe
	v_mul_f64_e32 v[18:19], s[2:3], v[16:17]
	s_mov_b32 s2, 0xb6ae7d56
	s_mov_b32 s3, 0x3f897f62
	v_fma_f64 v[116:117], v[66:67], v[112:113], v[54:55]
	s_delay_alu instid0(VALU_DEP_2) | instskip(NEXT) | instid1(VALU_DEP_1)
	v_mul_f64_e32 v[18:19], v[18:19], v[100:101]
	v_div_scale_f64 v[30:31], null, v[146:147], v[146:147], v[18:19]
	s_delay_alu instid0(VALU_DEP_1) | instskip(NEXT) | instid1(TRANS32_DEP_1)
	v_rcp_f64_e32 v[76:77], v[30:31]
	v_fma_f64 v[100:101], -v[30:31], v[76:77], 1.0
	s_delay_alu instid0(VALU_DEP_1) | instskip(NEXT) | instid1(VALU_DEP_1)
	v_fma_f64 v[76:77], v[76:77], v[100:101], v[76:77]
	v_fma_f64 v[100:101], -v[30:31], v[76:77], 1.0
	s_delay_alu instid0(VALU_DEP_1) | instskip(SKIP_1) | instid1(VALU_DEP_1)
	v_fma_f64 v[76:77], v[76:77], v[100:101], v[76:77]
	v_div_scale_f64 v[100:101], vcc_lo, v[18:19], v[146:147], v[18:19]
	v_mul_f64_e32 v[118:119], v[100:101], v[76:77]
	s_delay_alu instid0(VALU_DEP_1) | instskip(SKIP_1) | instid1(VALU_DEP_1)
	v_fma_f64 v[30:31], -v[30:31], v[118:119], v[100:101]
	s_wait_alu 0xfffd
	v_div_fmas_f64 v[30:31], v[30:31], v[76:77], v[118:119]
	s_delay_alu instid0(VALU_DEP_1) | instskip(SKIP_4) | instid1(VALU_DEP_1)
	v_div_fixup_f64 v[18:19], v[30:31], v[146:147], v[18:19]
	s_wait_alu 0xfffe
	v_mul_f64_e32 v[30:31], s[2:3], v[16:17]
	s_mov_b32 s2, 0xe2308c3a
	s_mov_b32 s3, 0x3e45798e
	v_mul_f64_e32 v[30:31], v[30:31], v[102:103]
	s_delay_alu instid0(VALU_DEP_1) | instskip(NEXT) | instid1(VALU_DEP_1)
	v_div_scale_f64 v[76:77], null, v[146:147], v[146:147], v[30:31]
	v_rcp_f64_e32 v[100:101], v[76:77]
	s_delay_alu instid0(TRANS32_DEP_1) | instskip(NEXT) | instid1(VALU_DEP_1)
	v_fma_f64 v[102:103], -v[76:77], v[100:101], 1.0
	v_fma_f64 v[100:101], v[100:101], v[102:103], v[100:101]
	s_delay_alu instid0(VALU_DEP_1) | instskip(NEXT) | instid1(VALU_DEP_1)
	v_fma_f64 v[102:103], -v[76:77], v[100:101], 1.0
	v_fma_f64 v[100:101], v[100:101], v[102:103], v[100:101]
	v_div_scale_f64 v[102:103], vcc_lo, v[30:31], v[146:147], v[30:31]
	s_delay_alu instid0(VALU_DEP_1) | instskip(NEXT) | instid1(VALU_DEP_1)
	v_mul_f64_e32 v[118:119], v[102:103], v[100:101]
	v_fma_f64 v[76:77], -v[76:77], v[118:119], v[102:103]
	s_wait_alu 0xfffd
	s_delay_alu instid0(VALU_DEP_1) | instskip(NEXT) | instid1(VALU_DEP_1)
	v_div_fmas_f64 v[76:77], v[76:77], v[100:101], v[118:119]
	v_div_fixup_f64 v[30:31], v[76:77], v[146:147], v[30:31]
	s_delay_alu instid0(VALU_DEP_1) | instskip(NEXT) | instid1(VALU_DEP_1)
	v_add_f64_e32 v[18:19], v[18:19], v[30:31]
	v_mul_f64_e32 v[18:19], v[98:99], v[18:19]
	s_delay_alu instid0(VALU_DEP_1) | instskip(SKIP_1) | instid1(VALU_DEP_1)
	v_mul_f64_e32 v[18:19], v[26:27], v[18:19]
	v_mul_f64_e32 v[26:27], v[104:105], v[104:105]
	;; [unrolled: 1-line block ×3, first 2 shown]
	s_delay_alu instid0(VALU_DEP_1) | instskip(NEXT) | instid1(VALU_DEP_1)
	v_div_scale_f64 v[30:31], null, v[26:27], v[26:27], v[18:19]
	v_rcp_f64_e32 v[76:77], v[30:31]
	s_delay_alu instid0(TRANS32_DEP_1) | instskip(NEXT) | instid1(VALU_DEP_1)
	v_fma_f64 v[96:97], -v[30:31], v[76:77], 1.0
	v_fma_f64 v[76:77], v[76:77], v[96:97], v[76:77]
	s_delay_alu instid0(VALU_DEP_1) | instskip(NEXT) | instid1(VALU_DEP_1)
	v_fma_f64 v[96:97], -v[30:31], v[76:77], 1.0
	v_fma_f64 v[76:77], v[76:77], v[96:97], v[76:77]
	v_div_scale_f64 v[96:97], vcc_lo, v[18:19], v[26:27], v[18:19]
	s_delay_alu instid0(VALU_DEP_1) | instskip(NEXT) | instid1(VALU_DEP_1)
	v_mul_f64_e32 v[98:99], v[96:97], v[76:77]
	v_fma_f64 v[30:31], -v[30:31], v[98:99], v[96:97]
	s_wait_alu 0xfffd
	s_delay_alu instid0(VALU_DEP_1) | instskip(NEXT) | instid1(VALU_DEP_1)
	v_div_fmas_f64 v[30:31], v[30:31], v[76:77], v[98:99]
	v_div_fixup_f64 v[18:19], v[30:31], v[26:27], v[18:19]
	v_mul_f64_e32 v[26:27], v[38:39], v[16:17]
	s_delay_alu instid0(VALU_DEP_1) | instskip(NEXT) | instid1(VALU_DEP_1)
	v_mul_f64_e32 v[26:27], v[36:37], v[26:27]
	v_mul_f64_e32 v[26:27], v[160:161], v[26:27]
	s_delay_alu instid0(VALU_DEP_1) | instskip(NEXT) | instid1(VALU_DEP_1)
	v_mul_f64_e32 v[26:27], v[26:27], v[164:165]
	v_div_scale_f64 v[30:31], null, v[146:147], v[146:147], v[26:27]
	s_delay_alu instid0(VALU_DEP_1) | instskip(NEXT) | instid1(TRANS32_DEP_1)
	v_rcp_f64_e32 v[36:37], v[30:31]
	v_fma_f64 v[38:39], -v[30:31], v[36:37], 1.0
	s_delay_alu instid0(VALU_DEP_1) | instskip(NEXT) | instid1(VALU_DEP_1)
	v_fma_f64 v[36:37], v[36:37], v[38:39], v[36:37]
	v_fma_f64 v[38:39], -v[30:31], v[36:37], 1.0
	s_delay_alu instid0(VALU_DEP_1) | instskip(SKIP_1) | instid1(VALU_DEP_1)
	v_fma_f64 v[36:37], v[36:37], v[38:39], v[36:37]
	v_div_scale_f64 v[38:39], vcc_lo, v[26:27], v[146:147], v[26:27]
	v_mul_f64_e32 v[76:77], v[38:39], v[36:37]
	s_delay_alu instid0(VALU_DEP_1) | instskip(SKIP_1) | instid1(VALU_DEP_1)
	v_fma_f64 v[30:31], -v[30:31], v[76:77], v[38:39]
	s_wait_alu 0xfffd
	v_div_fmas_f64 v[30:31], v[30:31], v[36:37], v[76:77]
	s_delay_alu instid0(VALU_DEP_1) | instskip(SKIP_1) | instid1(VALU_DEP_1)
	v_div_fixup_f64 v[26:27], v[30:31], v[146:147], v[26:27]
	v_mul_f64_e32 v[30:31], v[34:35], v[16:17]
	v_mul_f64_e32 v[30:31], v[162:163], v[30:31]
	s_delay_alu instid0(VALU_DEP_1) | instskip(NEXT) | instid1(VALU_DEP_1)
	v_mul_f64_e32 v[30:31], v[166:167], v[30:31]
	v_mul_f64_e32 v[30:31], v[40:41], v[30:31]
	s_delay_alu instid0(VALU_DEP_1) | instskip(NEXT) | instid1(VALU_DEP_1)
	v_mul_f64_e32 v[30:31], v[30:31], v[170:171]
	v_div_scale_f64 v[34:35], null, v[146:147], v[146:147], v[30:31]
	s_delay_alu instid0(VALU_DEP_1) | instskip(NEXT) | instid1(TRANS32_DEP_1)
	v_rcp_f64_e32 v[36:37], v[34:35]
	v_fma_f64 v[38:39], -v[34:35], v[36:37], 1.0
	s_delay_alu instid0(VALU_DEP_1) | instskip(NEXT) | instid1(VALU_DEP_1)
	v_fma_f64 v[36:37], v[36:37], v[38:39], v[36:37]
	v_fma_f64 v[38:39], -v[34:35], v[36:37], 1.0
	s_delay_alu instid0(VALU_DEP_1) | instskip(SKIP_1) | instid1(VALU_DEP_1)
	v_fma_f64 v[36:37], v[36:37], v[38:39], v[36:37]
	v_div_scale_f64 v[38:39], vcc_lo, v[30:31], v[146:147], v[30:31]
	v_mul_f64_e32 v[40:41], v[38:39], v[36:37]
	s_delay_alu instid0(VALU_DEP_1) | instskip(SKIP_1) | instid1(VALU_DEP_1)
	v_fma_f64 v[34:35], -v[34:35], v[40:41], v[38:39]
	s_wait_alu 0xfffd
	v_div_fmas_f64 v[34:35], v[34:35], v[36:37], v[40:41]
	s_delay_alu instid0(VALU_DEP_1) | instskip(NEXT) | instid1(VALU_DEP_1)
	v_div_fixup_f64 v[30:31], v[34:35], v[146:147], v[30:31]
	v_add_f64_e64 v[26:27], v[26:27], -v[30:31]
	s_delay_alu instid0(VALU_DEP_1) | instskip(SKIP_1) | instid1(VALU_DEP_2)
	v_mul_f64_e32 v[26:27], v[28:29], v[26:27]
	v_mul_f64_e32 v[28:29], v[28:29], v[16:17]
	v_div_scale_f64 v[30:31], null, v[174:175], v[174:175], v[26:27]
	s_delay_alu instid0(VALU_DEP_2) | instskip(SKIP_3) | instid1(TRANS32_DEP_1)
	v_mul_f64_e32 v[28:29], v[24:25], v[28:29]
	scratch_load_b64 v[24:25], off, off th:TH_LOAD_LU ; 8-byte Folded Reload
	v_rcp_f64_e32 v[34:35], v[30:31]
	v_mul_f64_e32 v[28:29], v[166:167], v[28:29]
	v_fma_f64 v[36:37], -v[30:31], v[34:35], 1.0
	s_delay_alu instid0(VALU_DEP_2) | instskip(NEXT) | instid1(VALU_DEP_2)
	v_mul_f64_e32 v[28:29], v[28:29], v[172:173]
	v_fma_f64 v[34:35], v[34:35], v[36:37], v[34:35]
	s_delay_alu instid0(VALU_DEP_2) | instskip(NEXT) | instid1(VALU_DEP_2)
	v_mul_f64_e32 v[28:29], v[170:171], v[28:29]
	v_fma_f64 v[36:37], -v[30:31], v[34:35], 1.0
	s_delay_alu instid0(VALU_DEP_1) | instskip(SKIP_1) | instid1(VALU_DEP_1)
	v_fma_f64 v[34:35], v[34:35], v[36:37], v[34:35]
	v_div_scale_f64 v[36:37], vcc_lo, v[26:27], v[174:175], v[26:27]
	v_mul_f64_e32 v[38:39], v[36:37], v[34:35]
	s_delay_alu instid0(VALU_DEP_1) | instskip(SKIP_1) | instid1(VALU_DEP_1)
	v_fma_f64 v[30:31], -v[30:31], v[38:39], v[36:37]
	s_wait_alu 0xfffd
	v_div_fmas_f64 v[30:31], v[30:31], v[34:35], v[38:39]
	s_wait_loadcnt 0x0
	v_add_f64_e64 v[22:23], -v[24:25], -v[22:23]
	s_delay_alu instid0(VALU_DEP_2) | instskip(SKIP_1) | instid1(VALU_DEP_3)
	v_div_fixup_f64 v[26:27], v[30:31], v[174:175], v[26:27]
	v_mul_f64_e32 v[30:31], v[168:169], v[168:169]
	v_add_f64_e64 v[22:23], v[22:23], -v[116:117]
	s_delay_alu instid0(VALU_DEP_2) | instskip(NEXT) | instid1(VALU_DEP_2)
	v_mul_f64_e32 v[30:31], v[146:147], v[30:31]
	v_fma_f64 v[22:23], -v[12:13], v[32:33], v[22:23]
	s_delay_alu instid0(VALU_DEP_2) | instskip(NEXT) | instid1(VALU_DEP_2)
	v_mul_f64_e32 v[30:31], v[158:159], v[30:31]
	v_fma_f64 v[22:23], -v[114:115], v[186:187], v[22:23]
	s_delay_alu instid0(VALU_DEP_2) | instskip(NEXT) | instid1(VALU_DEP_1)
	v_mul_f64_e32 v[30:31], v[156:157], v[30:31]
	v_div_scale_f64 v[34:35], null, v[30:31], v[30:31], v[28:29]
	s_delay_alu instid0(VALU_DEP_1) | instskip(NEXT) | instid1(TRANS32_DEP_1)
	v_rcp_f64_e32 v[36:37], v[34:35]
	v_fma_f64 v[38:39], -v[34:35], v[36:37], 1.0
	s_delay_alu instid0(VALU_DEP_1) | instskip(NEXT) | instid1(VALU_DEP_1)
	v_fma_f64 v[36:37], v[36:37], v[38:39], v[36:37]
	v_fma_f64 v[38:39], -v[34:35], v[36:37], 1.0
	s_delay_alu instid0(VALU_DEP_1) | instskip(SKIP_1) | instid1(VALU_DEP_1)
	v_fma_f64 v[36:37], v[36:37], v[38:39], v[36:37]
	v_div_scale_f64 v[38:39], vcc_lo, v[28:29], v[30:31], v[28:29]
	v_mul_f64_e32 v[40:41], v[38:39], v[36:37]
	s_delay_alu instid0(VALU_DEP_1) | instskip(SKIP_1) | instid1(VALU_DEP_1)
	v_fma_f64 v[34:35], -v[34:35], v[40:41], v[38:39]
	s_wait_alu 0xfffd
	v_div_fmas_f64 v[34:35], v[34:35], v[36:37], v[40:41]
	s_delay_alu instid0(VALU_DEP_1) | instskip(NEXT) | instid1(VALU_DEP_1)
	v_div_fixup_f64 v[28:29], v[34:35], v[30:31], v[28:29]
	v_add_f64_e64 v[26:27], v[26:27], -v[28:29]
	s_delay_alu instid0(VALU_DEP_1) | instskip(NEXT) | instid1(VALU_DEP_1)
	v_add_f64_e64 v[22:23], v[22:23], -v[26:27]
	v_add_f64_e64 v[18:19], v[22:23], -v[18:19]
	s_delay_alu instid0(VALU_DEP_1) | instskip(NEXT) | instid1(VALU_DEP_1)
	v_fma_f64 v[18:19], -v[20:21], v[84:85], v[18:19]
                                        ; implicit-def: $vgpr20_vgpr21
	v_add_f64_e64 v[18:19], v[18:19], -v[74:75]
	s_delay_alu instid0(VALU_DEP_1) | instskip(NEXT) | instid1(VALU_DEP_1)
	v_fma_f64 v[18:19], -v[8:9], v[42:43], v[18:19]
	v_fma_f64 v[18:19], -v[66:67], v[112:113], v[18:19]
	s_delay_alu instid0(VALU_DEP_1) | instskip(SKIP_1) | instid1(VALU_DEP_1)
	v_fma_f64 v[18:19], -v[108:109], v[72:73], v[18:19]
	s_wait_alu 0xfffe
	v_cmp_ngt_f64_e64 s1, |v[18:19]|, s[2:3]
	s_and_saveexec_b32 s2, s1
	s_wait_alu 0xfffe
	s_xor_b32 s1, exec_lo, s2
	s_cbranch_execz .LBB0_79
; %bb.78:
	v_mul_f64_e32 v[20:21], s[12:13], v[70:71]
                                        ; implicit-def: $vgpr18_vgpr19
                                        ; implicit-def: $vgpr70_vgpr71
.LBB0_79:
	s_wait_alu 0xfffe
	s_or_saveexec_b32 s2, s1
	v_mul_f64_e32 v[22:23], v[8:9], v[106:107]
	v_mul_f64_e32 v[24:25], v[78:79], v[110:111]
	;; [unrolled: 1-line block ×5, first 2 shown]
	s_wait_alu 0xfffe
	s_xor_b32 exec_lo, exec_lo, s2
	s_cbranch_execz .LBB0_81
; %bb.80:
	v_mul_f64_e32 v[20:21], s[12:13], v[18:19]
	s_mov_b32 s4, 0x652b82fe
	s_mov_b32 s5, 0x3ff71547
	;; [unrolled: 1-line block ×4, first 2 shown]
	s_wait_alu 0xfffe
	s_delay_alu instid0(VALU_DEP_1) | instskip(SKIP_4) | instid1(VALU_DEP_3)
	v_mul_f64_e32 v[30:31], s[4:5], v[20:21]
	s_mov_b32 s4, 0xfefa39ef
	s_mov_b32 s5, 0xbfe62e42
	v_cmp_nlt_f64_e32 vcc_lo, 0x40900000, v[20:21]
	v_cmp_ngt_f64_e64 s1, 0xc090cc00, v[20:21]
	v_rndne_f64_e32 v[30:31], v[30:31]
	s_wait_alu 0xfffe
	s_delay_alu instid0(VALU_DEP_1) | instskip(SKIP_4) | instid1(VALU_DEP_2)
	v_fma_f64 v[32:33], v[30:31], s[4:5], v[20:21]
	s_mov_b32 s4, 0x3b39803f
	s_mov_b32 s5, 0xbc7abc9e
	v_cvt_i32_f64_e32 v36, v[30:31]
	s_wait_alu 0xfffe
	v_fma_f64 v[32:33], v[30:31], s[4:5], v[32:33]
	s_mov_b32 s4, 0xfca7ab0c
	s_mov_b32 s5, 0x3e928af3
	s_wait_alu 0xfffe
	s_delay_alu instid0(VALU_DEP_1) | instskip(SKIP_3) | instid1(VALU_DEP_1)
	v_fma_f64 v[34:35], v[32:33], s[6:7], s[4:5]
	s_mov_b32 s4, 0x623fde64
	s_mov_b32 s5, 0x3ec71dee
	s_wait_alu 0xfffe
	v_fma_f64 v[34:35], v[32:33], v[34:35], s[4:5]
	s_mov_b32 s4, 0x7c89e6b0
	s_mov_b32 s5, 0x3efa0199
	s_wait_alu 0xfffe
	s_delay_alu instid0(VALU_DEP_1) | instskip(SKIP_3) | instid1(VALU_DEP_1)
	v_fma_f64 v[34:35], v[32:33], v[34:35], s[4:5]
	s_mov_b32 s4, 0x14761f6e
	s_mov_b32 s5, 0x3f2a01a0
	;; [unrolled: 9-line block ×4, first 2 shown]
	s_wait_alu 0xfffe
	v_fma_f64 v[34:35], v[32:33], v[34:35], s[4:5]
	s_mov_b32 s4, 11
	s_mov_b32 s5, 0x3fe00000
	s_wait_alu 0xfffe
	s_delay_alu instid0(VALU_DEP_1) | instskip(NEXT) | instid1(VALU_DEP_1)
	v_fma_f64 v[34:35], v[32:33], v[34:35], s[4:5]
	v_fma_f64 v[34:35], v[32:33], v[34:35], 1.0
	s_delay_alu instid0(VALU_DEP_1) | instskip(NEXT) | instid1(VALU_DEP_1)
	v_fma_f64 v[30:31], v[32:33], v[34:35], 1.0
	v_ldexp_f64 v[30:31], v[30:31], v36
	s_delay_alu instid0(VALU_DEP_1) | instskip(SKIP_1) | instid1(VALU_DEP_1)
	v_add_f64_e32 v[30:31], -1.0, v[30:31]
	s_wait_alu 0xfffd
	v_cndmask_b32_e32 v31, 0x7ff00000, v31, vcc_lo
	s_and_b32 vcc_lo, s1, vcc_lo
	s_wait_alu 0xfffe
	s_delay_alu instid0(VALU_DEP_2) | instskip(NEXT) | instid1(VALU_DEP_2)
	v_cndmask_b32_e32 v20, 0, v30, vcc_lo
	v_cndmask_b32_e64 v21, 0xbff00000, v31, s1
	s_delay_alu instid0(VALU_DEP_1) | instskip(NEXT) | instid1(VALU_DEP_1)
	v_mul_f64_e32 v[20:21], v[70:71], v[20:21]
	v_div_scale_f64 v[30:31], null, v[18:19], v[18:19], v[20:21]
	s_delay_alu instid0(VALU_DEP_1) | instskip(NEXT) | instid1(TRANS32_DEP_1)
	v_rcp_f64_e32 v[32:33], v[30:31]
	v_fma_f64 v[34:35], -v[30:31], v[32:33], 1.0
	s_delay_alu instid0(VALU_DEP_1) | instskip(NEXT) | instid1(VALU_DEP_1)
	v_fma_f64 v[32:33], v[32:33], v[34:35], v[32:33]
	v_fma_f64 v[34:35], -v[30:31], v[32:33], 1.0
	s_delay_alu instid0(VALU_DEP_1) | instskip(SKIP_1) | instid1(VALU_DEP_1)
	v_fma_f64 v[32:33], v[32:33], v[34:35], v[32:33]
	v_div_scale_f64 v[34:35], vcc_lo, v[20:21], v[18:19], v[20:21]
	v_mul_f64_e32 v[36:37], v[34:35], v[32:33]
	s_delay_alu instid0(VALU_DEP_1) | instskip(SKIP_1) | instid1(VALU_DEP_1)
	v_fma_f64 v[30:31], -v[30:31], v[36:37], v[34:35]
	s_wait_alu 0xfffd
	v_div_fmas_f64 v[30:31], v[30:31], v[32:33], v[36:37]
	s_delay_alu instid0(VALU_DEP_1)
	v_div_fixup_f64 v[20:21], v[30:31], v[18:19], v[20:21]
.LBB0_81:
	s_or_b32 exec_lo, exec_lo, s2
	s_delay_alu instid0(VALU_DEP_2) | instskip(SKIP_3) | instid1(VALU_DEP_2)
	v_add_f64_e64 v[18:19], -v[26:27], -v[28:29]
	s_mov_b32 s2, 0x6acf4366
	s_mov_b32 s3, 0xbf440ed7
	v_mul_f64_e32 v[8:9], v[8:9], v[42:43]
	v_add_f64_e64 v[18:19], v[18:19], -v[24:25]
	s_wait_alu 0xfffe
	v_fma_f64 v[24:25], v[82:83], s[2:3], -v[62:63]
	s_delay_alu instid0(VALU_DEP_2) | instskip(NEXT) | instid1(VALU_DEP_2)
	v_add_f64_e64 v[18:19], v[18:19], -v[68:69]
	v_div_scale_f64 v[30:31], null, v[138:139], v[138:139], v[24:25]
	s_delay_alu instid0(VALU_DEP_2) | instskip(NEXT) | instid1(VALU_DEP_2)
	v_add_f64_e64 v[18:19], v[18:19], -v[92:93]
	v_rcp_f64_e32 v[38:39], v[30:31]
	s_delay_alu instid0(VALU_DEP_1) | instskip(SKIP_2) | instid1(TRANS32_DEP_1)
	v_add_f64_e64 v[18:19], v[18:19], -v[22:23]
	v_mul_f64_e32 v[22:23], v[80:81], v[16:17]
	v_mul_f64_e32 v[16:17], v[6:7], v[16:17]
	v_fma_f64 v[68:69], -v[30:31], v[38:39], 1.0
	s_delay_alu instid0(VALU_DEP_4) | instskip(NEXT) | instid1(VALU_DEP_4)
	v_fma_f64 v[18:19], v[94:95], 2.0, v[18:19]
	v_div_scale_f64 v[28:29], null, v[22:23], v[22:23], v[88:89]
	s_delay_alu instid0(VALU_DEP_4) | instskip(NEXT) | instid1(VALU_DEP_4)
	v_div_scale_f64 v[32:33], null, v[16:17], v[16:17], v[88:89]
	v_fma_f64 v[38:39], v[38:39], v[68:69], v[38:39]
	s_delay_alu instid0(VALU_DEP_4) | instskip(NEXT) | instid1(VALU_DEP_4)
	v_mul_f64_e32 v[18:19], v[14:15], v[18:19]
	v_rcp_f64_e32 v[36:37], v[28:29]
	s_delay_alu instid0(VALU_DEP_3) | instskip(NEXT) | instid1(VALU_DEP_2)
	v_rcp_f64_e32 v[40:41], v[32:33]
	v_fma_f64 v[68:69], -v[30:31], v[38:39], 1.0
	s_delay_alu instid0(VALU_DEP_2) | instskip(SKIP_1) | instid1(TRANS32_DEP_2)
	v_div_scale_f64 v[26:27], null, v[86:87], v[86:87], v[18:19]
	v_div_scale_f64 v[72:73], vcc_lo, v[18:19], v[86:87], v[18:19]
	v_fma_f64 v[64:65], -v[28:29], v[36:37], 1.0
	s_delay_alu instid0(TRANS32_DEP_1) | instskip(SKIP_3) | instid1(VALU_DEP_4)
	v_fma_f64 v[70:71], -v[32:33], v[40:41], 1.0
	v_fma_f64 v[38:39], v[38:39], v[68:69], v[38:39]
	v_div_scale_f64 v[68:69], s3, v[88:89], v[16:17], v[88:89]
	v_rcp_f64_e32 v[34:35], v[26:27]
	v_fma_f64 v[36:37], v[36:37], v[64:65], v[36:37]
	s_delay_alu instid0(VALU_DEP_4) | instskip(NEXT) | instid1(TRANS32_DEP_1)
	v_fma_f64 v[40:41], v[40:41], v[70:71], v[40:41]
	v_fma_f64 v[62:63], -v[26:27], v[34:35], 1.0
	s_delay_alu instid0(VALU_DEP_3) | instskip(NEXT) | instid1(VALU_DEP_3)
	v_fma_f64 v[64:65], -v[28:29], v[36:37], 1.0
	v_fma_f64 v[70:71], -v[32:33], v[40:41], 1.0
	s_delay_alu instid0(VALU_DEP_3) | instskip(NEXT) | instid1(VALU_DEP_3)
	v_fma_f64 v[34:35], v[34:35], v[62:63], v[34:35]
	v_fma_f64 v[36:37], v[36:37], v[64:65], v[36:37]
	v_div_scale_f64 v[64:65], s2, v[24:25], v[138:139], v[24:25]
	s_delay_alu instid0(VALU_DEP_4) | instskip(NEXT) | instid1(VALU_DEP_4)
	v_fma_f64 v[40:41], v[40:41], v[70:71], v[40:41]
	v_fma_f64 v[62:63], -v[26:27], v[34:35], 1.0
	s_delay_alu instid0(VALU_DEP_3) | instskip(NEXT) | instid1(VALU_DEP_3)
	v_mul_f64_e32 v[76:77], v[64:65], v[38:39]
	v_mul_f64_e32 v[80:81], v[68:69], v[40:41]
	s_delay_alu instid0(VALU_DEP_3) | instskip(SKIP_1) | instid1(VALU_DEP_4)
	v_fma_f64 v[34:35], v[34:35], v[62:63], v[34:35]
	v_div_scale_f64 v[62:63], s1, v[88:89], v[22:23], v[88:89]
	v_fma_f64 v[30:31], -v[30:31], v[76:77], v[64:65]
	s_delay_alu instid0(VALU_DEP_4) | instskip(NEXT) | instid1(VALU_DEP_4)
	v_fma_f64 v[32:33], -v[32:33], v[80:81], v[68:69]
	v_mul_f64_e32 v[70:71], v[72:73], v[34:35]
	s_delay_alu instid0(VALU_DEP_4) | instskip(NEXT) | instid1(VALU_DEP_2)
	v_mul_f64_e32 v[74:75], v[62:63], v[36:37]
	v_fma_f64 v[26:27], -v[26:27], v[70:71], v[72:73]
	s_delay_alu instid0(VALU_DEP_2) | instskip(SKIP_1) | instid1(VALU_DEP_2)
	v_fma_f64 v[28:29], -v[28:29], v[74:75], v[62:63]
	s_wait_alu 0xfffd
	v_div_fmas_f64 v[26:27], v[26:27], v[34:35], v[70:71]
	s_mov_b32 vcc_lo, s1
	s_wait_alu 0xfffe
	s_delay_alu instid0(VALU_DEP_2)
	v_div_fmas_f64 v[28:29], v[28:29], v[36:37], v[74:75]
	s_mov_b32 vcc_lo, s2
	s_wait_alu 0xfffe
	v_div_fmas_f64 v[30:31], v[30:31], v[38:39], v[76:77]
	s_mov_b32 vcc_lo, s3
	s_wait_alu 0xfffe
	v_div_fmas_f64 v[32:33], v[32:33], v[40:41], v[80:81]
	s_mov_b32 vcc_lo, s0
	s_mov_b32 s0, 0xe2308c3a
	s_mov_b32 s1, 0x3e45798e
	s_delay_alu instid0(VALU_DEP_2) | instskip(NEXT) | instid1(VALU_DEP_2)
	v_div_fixup_f64 v[24:25], v[30:31], v[138:139], v[24:25]
	v_div_fixup_f64 v[16:17], v[32:33], v[16:17], v[88:89]
	s_delay_alu instid0(VALU_DEP_2) | instskip(NEXT) | instid1(VALU_DEP_2)
	v_add_f64_e64 v[24:25], v[24:25], -v[60:61]
	v_mul_f64_e32 v[32:33], v[16:17], v[56:57]
	s_delay_alu instid0(VALU_DEP_2) | instskip(SKIP_1) | instid1(VALU_DEP_2)
	v_mul_f64_e32 v[30:31], v[16:17], v[24:25]
	v_fma_f64 v[24:25], v[24:25], v[44:45], v[58:59]
	v_mul_f64_e32 v[30:31], v[44:45], v[30:31]
	s_delay_alu instid0(VALU_DEP_2) | instskip(NEXT) | instid1(VALU_DEP_2)
	v_fma_f64 v[24:25], v[66:67], v[24:25], -v[54:55]
	v_fma_f64 v[30:31], v[32:33], v[52:53], v[30:31]
	s_delay_alu instid0(VALU_DEP_2) | instskip(SKIP_2) | instid1(VALU_DEP_2)
	v_mul_f64_e32 v[24:25], v[16:17], v[24:25]
	s_wait_alu 0xfffe
	v_div_fmas_f64 v[32:33], v[50:51], v[46:47], v[48:49]
	v_fma_f64 v[24:25], v[66:67], -v[30:31], -v[24:25]
	s_delay_alu instid0(VALU_DEP_2) | instskip(NEXT) | instid1(VALU_DEP_2)
	v_div_fixup_f64 v[10:11], v[32:33], v[90:91], v[10:11]
	v_fma_f64 v[12:13], v[16:17], v[12:13], v[24:25]
	s_delay_alu instid0(VALU_DEP_1) | instskip(SKIP_1) | instid1(VALU_DEP_2)
	v_fma_f64 v[10:11], v[10:11], v[16:17], v[12:13]
	v_div_fixup_f64 v[12:13], v[28:29], v[22:23], v[88:89]
	v_fma_f64 v[8:9], v[8:9], v[16:17], v[10:11]
	s_delay_alu instid0(VALU_DEP_1) | instskip(NEXT) | instid1(VALU_DEP_1)
	v_fma_f64 v[8:9], v[78:79], v[12:13], v[8:9]
	v_mul_f64_e32 v[8:9], v[14:15], v[8:9]
	s_delay_alu instid0(VALU_DEP_1) | instskip(NEXT) | instid1(VALU_DEP_1)
	v_div_scale_f64 v[10:11], null, v[86:87], v[86:87], v[8:9]
	v_rcp_f64_e32 v[12:13], v[10:11]
	s_delay_alu instid0(TRANS32_DEP_1) | instskip(NEXT) | instid1(VALU_DEP_1)
	v_fma_f64 v[14:15], -v[10:11], v[12:13], 1.0
	v_fma_f64 v[12:13], v[12:13], v[14:15], v[12:13]
	s_delay_alu instid0(VALU_DEP_1) | instskip(NEXT) | instid1(VALU_DEP_1)
	v_fma_f64 v[14:15], -v[10:11], v[12:13], 1.0
	v_fma_f64 v[12:13], v[12:13], v[14:15], v[12:13]
	v_div_scale_f64 v[14:15], vcc_lo, v[8:9], v[86:87], v[8:9]
	s_delay_alu instid0(VALU_DEP_1) | instskip(NEXT) | instid1(VALU_DEP_1)
	v_mul_f64_e32 v[16:17], v[14:15], v[12:13]
	v_fma_f64 v[10:11], -v[10:11], v[16:17], v[14:15]
	s_wait_alu 0xfffd
	s_delay_alu instid0(VALU_DEP_1) | instskip(NEXT) | instid1(VALU_DEP_1)
	v_div_fmas_f64 v[10:11], v[10:11], v[12:13], v[16:17]
	v_div_fixup_f64 v[8:9], v[10:11], v[86:87], v[8:9]
	v_add_f64_e32 v[10:11], v[2:3], v[20:21]
	v_div_fixup_f64 v[2:3], v[26:27], v[86:87], v[18:19]
	s_delay_alu instid0(VALU_DEP_3)
	v_cmp_ngt_f64_e64 s0, |v[8:9]|, s[0:1]
	global_store_b64 v[0:1], v[10:11], off
                                        ; implicit-def: $vgpr0_vgpr1
	s_and_saveexec_b32 s1, s0
	s_wait_alu 0xfffe
	s_xor_b32 s0, exec_lo, s1
	s_cbranch_execz .LBB0_83
; %bb.82:
	v_mul_f64_e32 v[0:1], s[12:13], v[2:3]
                                        ; implicit-def: $vgpr8_vgpr9
                                        ; implicit-def: $vgpr2_vgpr3
.LBB0_83:
	s_wait_alu 0xfffe
	s_and_not1_saveexec_b32 s1, s0
	s_cbranch_execz .LBB0_85
; %bb.84:
	v_mul_f64_e32 v[0:1], s[12:13], v[8:9]
	s_mov_b32 s2, 0x652b82fe
	s_mov_b32 s3, 0x3ff71547
	;; [unrolled: 1-line block ×4, first 2 shown]
	s_wait_alu 0xfffe
	s_delay_alu instid0(VALU_DEP_1) | instskip(SKIP_4) | instid1(VALU_DEP_3)
	v_mul_f64_e32 v[10:11], s[2:3], v[0:1]
	s_mov_b32 s2, 0xfefa39ef
	s_mov_b32 s3, 0xbfe62e42
	v_cmp_nlt_f64_e32 vcc_lo, 0x40900000, v[0:1]
	v_cmp_ngt_f64_e64 s0, 0xc090cc00, v[0:1]
	v_rndne_f64_e32 v[10:11], v[10:11]
	s_wait_alu 0xfffe
	s_delay_alu instid0(VALU_DEP_1) | instskip(SKIP_4) | instid1(VALU_DEP_2)
	v_fma_f64 v[12:13], v[10:11], s[2:3], v[0:1]
	s_mov_b32 s2, 0x3b39803f
	s_mov_b32 s3, 0xbc7abc9e
	v_cvt_i32_f64_e32 v16, v[10:11]
	s_wait_alu 0xfffe
	v_fma_f64 v[12:13], v[10:11], s[2:3], v[12:13]
	s_mov_b32 s2, 0xfca7ab0c
	s_mov_b32 s3, 0x3e928af3
	s_wait_alu 0xfffe
	s_delay_alu instid0(VALU_DEP_1) | instskip(SKIP_3) | instid1(VALU_DEP_1)
	v_fma_f64 v[14:15], v[12:13], s[4:5], s[2:3]
	s_mov_b32 s2, 0x623fde64
	s_mov_b32 s3, 0x3ec71dee
	s_wait_alu 0xfffe
	v_fma_f64 v[14:15], v[12:13], v[14:15], s[2:3]
	s_mov_b32 s2, 0x7c89e6b0
	s_mov_b32 s3, 0x3efa0199
	s_wait_alu 0xfffe
	s_delay_alu instid0(VALU_DEP_1) | instskip(SKIP_3) | instid1(VALU_DEP_1)
	v_fma_f64 v[14:15], v[12:13], v[14:15], s[2:3]
	s_mov_b32 s2, 0x14761f6e
	s_mov_b32 s3, 0x3f2a01a0
	;; [unrolled: 9-line block ×4, first 2 shown]
	s_wait_alu 0xfffe
	v_fma_f64 v[14:15], v[12:13], v[14:15], s[2:3]
	s_mov_b32 s2, 11
	s_mov_b32 s3, 0x3fe00000
	s_wait_alu 0xfffe
	s_delay_alu instid0(VALU_DEP_1) | instskip(NEXT) | instid1(VALU_DEP_1)
	v_fma_f64 v[14:15], v[12:13], v[14:15], s[2:3]
	v_fma_f64 v[14:15], v[12:13], v[14:15], 1.0
	s_delay_alu instid0(VALU_DEP_1) | instskip(NEXT) | instid1(VALU_DEP_1)
	v_fma_f64 v[10:11], v[12:13], v[14:15], 1.0
	v_ldexp_f64 v[10:11], v[10:11], v16
	s_delay_alu instid0(VALU_DEP_1) | instskip(SKIP_1) | instid1(VALU_DEP_1)
	v_add_f64_e32 v[10:11], -1.0, v[10:11]
	s_wait_alu 0xfffd
	v_cndmask_b32_e32 v11, 0x7ff00000, v11, vcc_lo
	s_and_b32 vcc_lo, s0, vcc_lo
	s_wait_alu 0xfffe
	s_delay_alu instid0(VALU_DEP_2) | instskip(NEXT) | instid1(VALU_DEP_2)
	v_cndmask_b32_e32 v0, 0, v10, vcc_lo
	v_cndmask_b32_e64 v1, 0xbff00000, v11, s0
	s_delay_alu instid0(VALU_DEP_1) | instskip(NEXT) | instid1(VALU_DEP_1)
	v_mul_f64_e32 v[0:1], v[2:3], v[0:1]
	v_div_scale_f64 v[2:3], null, v[8:9], v[8:9], v[0:1]
	s_delay_alu instid0(VALU_DEP_1) | instskip(NEXT) | instid1(TRANS32_DEP_1)
	v_rcp_f64_e32 v[10:11], v[2:3]
	v_fma_f64 v[12:13], -v[2:3], v[10:11], 1.0
	s_delay_alu instid0(VALU_DEP_1) | instskip(NEXT) | instid1(VALU_DEP_1)
	v_fma_f64 v[10:11], v[10:11], v[12:13], v[10:11]
	v_fma_f64 v[12:13], -v[2:3], v[10:11], 1.0
	s_delay_alu instid0(VALU_DEP_1) | instskip(SKIP_1) | instid1(VALU_DEP_1)
	v_fma_f64 v[10:11], v[10:11], v[12:13], v[10:11]
	v_div_scale_f64 v[12:13], vcc_lo, v[0:1], v[8:9], v[0:1]
	v_mul_f64_e32 v[14:15], v[12:13], v[10:11]
	s_delay_alu instid0(VALU_DEP_1) | instskip(SKIP_1) | instid1(VALU_DEP_1)
	v_fma_f64 v[2:3], -v[2:3], v[14:15], v[12:13]
	s_wait_alu 0xfffd
	v_div_fmas_f64 v[2:3], v[2:3], v[10:11], v[14:15]
	s_delay_alu instid0(VALU_DEP_1)
	v_div_fixup_f64 v[0:1], v[2:3], v[8:9], v[0:1]
.LBB0_85:
	s_wait_alu 0xfffe
	s_or_b32 exec_lo, exec_lo, s1
	s_delay_alu instid0(VALU_DEP_1)
	v_add_f64_e32 v[0:1], v[6:7], v[0:1]
	global_store_b64 v[4:5], v[0:1], off
.LBB0_86:
	s_nop 0
	s_sendmsg sendmsg(MSG_DEALLOC_VGPRS)
	s_endpgm
	.section	.rodata,"a",@progbits
	.p2align	6, 0x0
	.amdhsa_kernel _Z21k_forward_rush_larsenPdddPKdi
		.amdhsa_group_segment_fixed_size 0
		.amdhsa_private_segment_fixed_size 140
		.amdhsa_kernarg_size 296
		.amdhsa_user_sgpr_count 2
		.amdhsa_user_sgpr_dispatch_ptr 0
		.amdhsa_user_sgpr_queue_ptr 0
		.amdhsa_user_sgpr_kernarg_segment_ptr 1
		.amdhsa_user_sgpr_dispatch_id 0
		.amdhsa_user_sgpr_private_segment_size 0
		.amdhsa_wavefront_size32 1
		.amdhsa_uses_dynamic_stack 0
		.amdhsa_enable_private_segment 1
		.amdhsa_system_sgpr_workgroup_id_x 1
		.amdhsa_system_sgpr_workgroup_id_y 0
		.amdhsa_system_sgpr_workgroup_id_z 0
		.amdhsa_system_sgpr_workgroup_info 0
		.amdhsa_system_vgpr_workitem_id 0
		.amdhsa_next_free_vgpr 192
		.amdhsa_next_free_sgpr 54
		.amdhsa_reserve_vcc 1
		.amdhsa_float_round_mode_32 0
		.amdhsa_float_round_mode_16_64 0
		.amdhsa_float_denorm_mode_32 3
		.amdhsa_float_denorm_mode_16_64 3
		.amdhsa_fp16_overflow 0
		.amdhsa_workgroup_processor_mode 1
		.amdhsa_memory_ordered 1
		.amdhsa_forward_progress 1
		.amdhsa_inst_pref_size 255
		.amdhsa_round_robin_scheduling 0
		.amdhsa_exception_fp_ieee_invalid_op 0
		.amdhsa_exception_fp_denorm_src 0
		.amdhsa_exception_fp_ieee_div_zero 0
		.amdhsa_exception_fp_ieee_overflow 0
		.amdhsa_exception_fp_ieee_underflow 0
		.amdhsa_exception_fp_ieee_inexact 0
		.amdhsa_exception_int_div_zero 0
	.end_amdhsa_kernel
	.text
.Lfunc_end0:
	.size	_Z21k_forward_rush_larsenPdddPKdi, .Lfunc_end0-_Z21k_forward_rush_larsenPdddPKdi
                                        ; -- End function
	.set _Z21k_forward_rush_larsenPdddPKdi.num_vgpr, 192
	.set _Z21k_forward_rush_larsenPdddPKdi.num_agpr, 0
	.set _Z21k_forward_rush_larsenPdddPKdi.numbered_sgpr, 54
	.set _Z21k_forward_rush_larsenPdddPKdi.num_named_barrier, 0
	.set _Z21k_forward_rush_larsenPdddPKdi.private_seg_size, 140
	.set _Z21k_forward_rush_larsenPdddPKdi.uses_vcc, 1
	.set _Z21k_forward_rush_larsenPdddPKdi.uses_flat_scratch, 1
	.set _Z21k_forward_rush_larsenPdddPKdi.has_dyn_sized_stack, 0
	.set _Z21k_forward_rush_larsenPdddPKdi.has_recursion, 0
	.set _Z21k_forward_rush_larsenPdddPKdi.has_indirect_call, 0
	.section	.AMDGPU.csdata,"",@progbits
; Kernel info:
; codeLenInByte = 56736
; TotalNumSgprs: 56
; NumVgprs: 192
; ScratchSize: 140
; MemoryBound: 0
; FloatMode: 240
; IeeeMode: 1
; LDSByteSize: 0 bytes/workgroup (compile time only)
; SGPRBlocks: 0
; VGPRBlocks: 23
; NumSGPRsForWavesPerEU: 56
; NumVGPRsForWavesPerEU: 192
; Occupancy: 8
; WaveLimiterHint : 0
; COMPUTE_PGM_RSRC2:SCRATCH_EN: 1
; COMPUTE_PGM_RSRC2:USER_SGPR: 2
; COMPUTE_PGM_RSRC2:TRAP_HANDLER: 0
; COMPUTE_PGM_RSRC2:TGID_X_EN: 1
; COMPUTE_PGM_RSRC2:TGID_Y_EN: 0
; COMPUTE_PGM_RSRC2:TGID_Z_EN: 0
; COMPUTE_PGM_RSRC2:TIDIG_COMP_CNT: 0
	.text
	.p2alignl 7, 3214868480
	.fill 96, 4, 3214868480
	.section	.AMDGPU.gpr_maximums,"",@progbits
	.set amdgpu.max_num_vgpr, 0
	.set amdgpu.max_num_agpr, 0
	.set amdgpu.max_num_sgpr, 0
	.text
	.type	__hip_cuid_fe355782c5c63bf6,@object ; @__hip_cuid_fe355782c5c63bf6
	.section	.bss,"aw",@nobits
	.globl	__hip_cuid_fe355782c5c63bf6
__hip_cuid_fe355782c5c63bf6:
	.byte	0                               ; 0x0
	.size	__hip_cuid_fe355782c5c63bf6, 1

	.ident	"AMD clang version 22.0.0git (https://github.com/RadeonOpenCompute/llvm-project roc-7.2.4 26084 f58b06dce1f9c15707c5f808fd002e18c2accf7e)"
	.section	".note.GNU-stack","",@progbits
	.addrsig
	.addrsig_sym __hip_cuid_fe355782c5c63bf6
	.amdgpu_metadata
---
amdhsa.kernels:
  - .args:
      - .address_space:  global
        .offset:         0
        .size:           8
        .value_kind:     global_buffer
      - .offset:         8
        .size:           8
        .value_kind:     by_value
      - .offset:         16
        .size:           8
        .value_kind:     by_value
      - .address_space:  global
        .offset:         24
        .size:           8
        .value_kind:     global_buffer
      - .offset:         32
        .size:           4
        .value_kind:     by_value
      - .offset:         40
        .size:           4
        .value_kind:     hidden_block_count_x
      - .offset:         44
        .size:           4
        .value_kind:     hidden_block_count_y
      - .offset:         48
        .size:           4
        .value_kind:     hidden_block_count_z
      - .offset:         52
        .size:           2
        .value_kind:     hidden_group_size_x
      - .offset:         54
        .size:           2
        .value_kind:     hidden_group_size_y
      - .offset:         56
        .size:           2
        .value_kind:     hidden_group_size_z
      - .offset:         58
        .size:           2
        .value_kind:     hidden_remainder_x
      - .offset:         60
        .size:           2
        .value_kind:     hidden_remainder_y
      - .offset:         62
        .size:           2
        .value_kind:     hidden_remainder_z
      - .offset:         80
        .size:           8
        .value_kind:     hidden_global_offset_x
      - .offset:         88
        .size:           8
        .value_kind:     hidden_global_offset_y
      - .offset:         96
        .size:           8
        .value_kind:     hidden_global_offset_z
      - .offset:         104
        .size:           2
        .value_kind:     hidden_grid_dims
    .group_segment_fixed_size: 0
    .kernarg_segment_align: 8
    .kernarg_segment_size: 296
    .language:       OpenCL C
    .language_version:
      - 2
      - 0
    .max_flat_workgroup_size: 1024
    .name:           _Z21k_forward_rush_larsenPdddPKdi
    .private_segment_fixed_size: 140
    .sgpr_count:     56
    .sgpr_spill_count: 0
    .symbol:         _Z21k_forward_rush_larsenPdddPKdi.kd
    .uniform_work_group_size: 1
    .uses_dynamic_stack: false
    .vgpr_count:     192
    .vgpr_spill_count: 34
    .wavefront_size: 32
    .workgroup_processor_mode: 1
amdhsa.target:   amdgcn-amd-amdhsa--gfx1201
amdhsa.version:
  - 1
  - 2
...

	.end_amdgpu_metadata
